;; amdgpu-corpus repo=ROCm/rocFFT kind=compiled arch=gfx1201 opt=O3
	.text
	.amdgcn_target "amdgcn-amd-amdhsa--gfx1201"
	.amdhsa_code_object_version 6
	.protected	fft_rtc_fwd_len676_factors_13_13_4_wgs_52_tpt_52_half_ip_CI_sbrr_dirReg ; -- Begin function fft_rtc_fwd_len676_factors_13_13_4_wgs_52_tpt_52_half_ip_CI_sbrr_dirReg
	.globl	fft_rtc_fwd_len676_factors_13_13_4_wgs_52_tpt_52_half_ip_CI_sbrr_dirReg
	.p2align	8
	.type	fft_rtc_fwd_len676_factors_13_13_4_wgs_52_tpt_52_half_ip_CI_sbrr_dirReg,@function
fft_rtc_fwd_len676_factors_13_13_4_wgs_52_tpt_52_half_ip_CI_sbrr_dirReg: ; @fft_rtc_fwd_len676_factors_13_13_4_wgs_52_tpt_52_half_ip_CI_sbrr_dirReg
; %bb.0:
	s_clause 0x2
	s_load_b64 s[12:13], s[0:1], 0x18
	s_load_b128 s[4:7], s[0:1], 0x0
	s_load_b64 s[10:11], s[0:1], 0x50
	v_mul_u32_u24_e32 v1, 0x4ed, v0
	v_mov_b32_e32 v3, 0
	s_delay_alu instid0(VALU_DEP_2) | instskip(NEXT) | instid1(VALU_DEP_1)
	v_lshrrev_b32_e32 v1, 16, v1
	v_add_nc_u32_e32 v5, ttmp9, v1
	v_mov_b32_e32 v1, 0
	v_mov_b32_e32 v2, 0
	;; [unrolled: 1-line block ×3, first 2 shown]
	s_wait_kmcnt 0x0
	s_load_b64 s[8:9], s[12:13], 0x0
	v_cmp_lt_u64_e64 s2, s[6:7], 2
	s_delay_alu instid0(VALU_DEP_1)
	s_and_b32 vcc_lo, exec_lo, s2
	s_cbranch_vccnz .LBB0_8
; %bb.1:
	s_load_b64 s[2:3], s[0:1], 0x10
	v_mov_b32_e32 v1, 0
	v_mov_b32_e32 v2, 0
	s_add_nc_u64 s[14:15], s[12:13], 8
	s_mov_b64 s[16:17], 1
	s_wait_kmcnt 0x0
	s_add_nc_u64 s[18:19], s[2:3], 8
	s_mov_b32 s3, 0
.LBB0_2:                                ; =>This Inner Loop Header: Depth=1
	s_load_b64 s[20:21], s[18:19], 0x0
                                        ; implicit-def: $vgpr7_vgpr8
	s_mov_b32 s2, exec_lo
	s_wait_kmcnt 0x0
	v_or_b32_e32 v4, s21, v6
	s_delay_alu instid0(VALU_DEP_1)
	v_cmpx_ne_u64_e32 0, v[3:4]
	s_wait_alu 0xfffe
	s_xor_b32 s22, exec_lo, s2
	s_cbranch_execz .LBB0_4
; %bb.3:                                ;   in Loop: Header=BB0_2 Depth=1
	s_cvt_f32_u32 s2, s20
	s_cvt_f32_u32 s23, s21
	s_sub_nc_u64 s[26:27], 0, s[20:21]
	s_wait_alu 0xfffe
	s_delay_alu instid0(SALU_CYCLE_1) | instskip(SKIP_1) | instid1(SALU_CYCLE_2)
	s_fmamk_f32 s2, s23, 0x4f800000, s2
	s_wait_alu 0xfffe
	v_s_rcp_f32 s2, s2
	s_delay_alu instid0(TRANS32_DEP_1) | instskip(SKIP_1) | instid1(SALU_CYCLE_2)
	s_mul_f32 s2, s2, 0x5f7ffffc
	s_wait_alu 0xfffe
	s_mul_f32 s23, s2, 0x2f800000
	s_wait_alu 0xfffe
	s_delay_alu instid0(SALU_CYCLE_2) | instskip(SKIP_1) | instid1(SALU_CYCLE_2)
	s_trunc_f32 s23, s23
	s_wait_alu 0xfffe
	s_fmamk_f32 s2, s23, 0xcf800000, s2
	s_cvt_u32_f32 s25, s23
	s_wait_alu 0xfffe
	s_delay_alu instid0(SALU_CYCLE_1) | instskip(SKIP_1) | instid1(SALU_CYCLE_2)
	s_cvt_u32_f32 s24, s2
	s_wait_alu 0xfffe
	s_mul_u64 s[28:29], s[26:27], s[24:25]
	s_wait_alu 0xfffe
	s_mul_hi_u32 s31, s24, s29
	s_mul_i32 s30, s24, s29
	s_mul_hi_u32 s2, s24, s28
	s_mul_i32 s33, s25, s28
	s_wait_alu 0xfffe
	s_add_nc_u64 s[30:31], s[2:3], s[30:31]
	s_mul_hi_u32 s23, s25, s28
	s_mul_hi_u32 s34, s25, s29
	s_add_co_u32 s2, s30, s33
	s_wait_alu 0xfffe
	s_add_co_ci_u32 s2, s31, s23
	s_mul_i32 s28, s25, s29
	s_add_co_ci_u32 s29, s34, 0
	s_wait_alu 0xfffe
	s_add_nc_u64 s[28:29], s[2:3], s[28:29]
	s_wait_alu 0xfffe
	v_add_co_u32 v4, s2, s24, s28
	s_delay_alu instid0(VALU_DEP_1) | instskip(SKIP_1) | instid1(VALU_DEP_1)
	s_cmp_lg_u32 s2, 0
	s_add_co_ci_u32 s25, s25, s29
	v_readfirstlane_b32 s24, v4
	s_wait_alu 0xfffe
	s_delay_alu instid0(VALU_DEP_1)
	s_mul_u64 s[26:27], s[26:27], s[24:25]
	s_wait_alu 0xfffe
	s_mul_hi_u32 s29, s24, s27
	s_mul_i32 s28, s24, s27
	s_mul_hi_u32 s2, s24, s26
	s_mul_i32 s30, s25, s26
	s_wait_alu 0xfffe
	s_add_nc_u64 s[28:29], s[2:3], s[28:29]
	s_mul_hi_u32 s23, s25, s26
	s_mul_hi_u32 s24, s25, s27
	s_wait_alu 0xfffe
	s_add_co_u32 s2, s28, s30
	s_add_co_ci_u32 s2, s29, s23
	s_mul_i32 s26, s25, s27
	s_add_co_ci_u32 s27, s24, 0
	s_wait_alu 0xfffe
	s_add_nc_u64 s[26:27], s[2:3], s[26:27]
	s_wait_alu 0xfffe
	v_add_co_u32 v4, s2, v4, s26
	s_delay_alu instid0(VALU_DEP_1) | instskip(SKIP_1) | instid1(VALU_DEP_1)
	s_cmp_lg_u32 s2, 0
	s_add_co_ci_u32 s2, s25, s27
	v_mul_hi_u32 v13, v5, v4
	s_wait_alu 0xfffe
	v_mad_co_u64_u32 v[7:8], null, v5, s2, 0
	v_mad_co_u64_u32 v[9:10], null, v6, v4, 0
	;; [unrolled: 1-line block ×3, first 2 shown]
	s_delay_alu instid0(VALU_DEP_3) | instskip(SKIP_1) | instid1(VALU_DEP_4)
	v_add_co_u32 v4, vcc_lo, v13, v7
	s_wait_alu 0xfffd
	v_add_co_ci_u32_e32 v7, vcc_lo, 0, v8, vcc_lo
	s_delay_alu instid0(VALU_DEP_2) | instskip(SKIP_1) | instid1(VALU_DEP_2)
	v_add_co_u32 v4, vcc_lo, v4, v9
	s_wait_alu 0xfffd
	v_add_co_ci_u32_e32 v4, vcc_lo, v7, v10, vcc_lo
	s_wait_alu 0xfffd
	v_add_co_ci_u32_e32 v7, vcc_lo, 0, v12, vcc_lo
	s_delay_alu instid0(VALU_DEP_2) | instskip(SKIP_1) | instid1(VALU_DEP_2)
	v_add_co_u32 v4, vcc_lo, v4, v11
	s_wait_alu 0xfffd
	v_add_co_ci_u32_e32 v9, vcc_lo, 0, v7, vcc_lo
	s_delay_alu instid0(VALU_DEP_2) | instskip(SKIP_1) | instid1(VALU_DEP_3)
	v_mul_lo_u32 v10, s21, v4
	v_mad_co_u64_u32 v[7:8], null, s20, v4, 0
	v_mul_lo_u32 v11, s20, v9
	s_delay_alu instid0(VALU_DEP_2) | instskip(NEXT) | instid1(VALU_DEP_2)
	v_sub_co_u32 v7, vcc_lo, v5, v7
	v_add3_u32 v8, v8, v11, v10
	s_delay_alu instid0(VALU_DEP_1) | instskip(SKIP_1) | instid1(VALU_DEP_1)
	v_sub_nc_u32_e32 v10, v6, v8
	s_wait_alu 0xfffd
	v_subrev_co_ci_u32_e64 v10, s2, s21, v10, vcc_lo
	v_add_co_u32 v11, s2, v4, 2
	s_wait_alu 0xf1ff
	v_add_co_ci_u32_e64 v12, s2, 0, v9, s2
	v_sub_co_u32 v13, s2, v7, s20
	v_sub_co_ci_u32_e32 v8, vcc_lo, v6, v8, vcc_lo
	s_wait_alu 0xf1ff
	v_subrev_co_ci_u32_e64 v10, s2, 0, v10, s2
	s_delay_alu instid0(VALU_DEP_3) | instskip(NEXT) | instid1(VALU_DEP_3)
	v_cmp_le_u32_e32 vcc_lo, s20, v13
	v_cmp_eq_u32_e64 s2, s21, v8
	s_wait_alu 0xfffd
	v_cndmask_b32_e64 v13, 0, -1, vcc_lo
	v_cmp_le_u32_e32 vcc_lo, s21, v10
	s_wait_alu 0xfffd
	v_cndmask_b32_e64 v14, 0, -1, vcc_lo
	v_cmp_le_u32_e32 vcc_lo, s20, v7
	;; [unrolled: 3-line block ×3, first 2 shown]
	s_wait_alu 0xfffd
	v_cndmask_b32_e64 v15, 0, -1, vcc_lo
	v_cmp_eq_u32_e32 vcc_lo, s21, v10
	s_wait_alu 0xf1ff
	s_delay_alu instid0(VALU_DEP_2)
	v_cndmask_b32_e64 v7, v15, v7, s2
	s_wait_alu 0xfffd
	v_cndmask_b32_e32 v10, v14, v13, vcc_lo
	v_add_co_u32 v13, vcc_lo, v4, 1
	s_wait_alu 0xfffd
	v_add_co_ci_u32_e32 v14, vcc_lo, 0, v9, vcc_lo
	s_delay_alu instid0(VALU_DEP_3) | instskip(SKIP_2) | instid1(VALU_DEP_3)
	v_cmp_ne_u32_e32 vcc_lo, 0, v10
	s_wait_alu 0xfffd
	v_cndmask_b32_e32 v10, v13, v11, vcc_lo
	v_cndmask_b32_e32 v8, v14, v12, vcc_lo
	v_cmp_ne_u32_e32 vcc_lo, 0, v7
	s_wait_alu 0xfffd
	s_delay_alu instid0(VALU_DEP_2)
	v_dual_cndmask_b32 v7, v4, v10 :: v_dual_cndmask_b32 v8, v9, v8
.LBB0_4:                                ;   in Loop: Header=BB0_2 Depth=1
	s_wait_alu 0xfffe
	s_and_not1_saveexec_b32 s2, s22
	s_cbranch_execz .LBB0_6
; %bb.5:                                ;   in Loop: Header=BB0_2 Depth=1
	v_cvt_f32_u32_e32 v4, s20
	s_sub_co_i32 s22, 0, s20
	s_delay_alu instid0(VALU_DEP_1) | instskip(NEXT) | instid1(TRANS32_DEP_1)
	v_rcp_iflag_f32_e32 v4, v4
	v_mul_f32_e32 v4, 0x4f7ffffe, v4
	s_delay_alu instid0(VALU_DEP_1) | instskip(SKIP_1) | instid1(VALU_DEP_1)
	v_cvt_u32_f32_e32 v4, v4
	s_wait_alu 0xfffe
	v_mul_lo_u32 v7, s22, v4
	s_delay_alu instid0(VALU_DEP_1) | instskip(NEXT) | instid1(VALU_DEP_1)
	v_mul_hi_u32 v7, v4, v7
	v_add_nc_u32_e32 v4, v4, v7
	s_delay_alu instid0(VALU_DEP_1) | instskip(NEXT) | instid1(VALU_DEP_1)
	v_mul_hi_u32 v4, v5, v4
	v_mul_lo_u32 v7, v4, s20
	v_add_nc_u32_e32 v8, 1, v4
	s_delay_alu instid0(VALU_DEP_2) | instskip(NEXT) | instid1(VALU_DEP_1)
	v_sub_nc_u32_e32 v7, v5, v7
	v_subrev_nc_u32_e32 v9, s20, v7
	v_cmp_le_u32_e32 vcc_lo, s20, v7
	s_wait_alu 0xfffd
	s_delay_alu instid0(VALU_DEP_2) | instskip(NEXT) | instid1(VALU_DEP_1)
	v_dual_cndmask_b32 v7, v7, v9 :: v_dual_cndmask_b32 v4, v4, v8
	v_cmp_le_u32_e32 vcc_lo, s20, v7
	s_delay_alu instid0(VALU_DEP_2) | instskip(SKIP_1) | instid1(VALU_DEP_1)
	v_add_nc_u32_e32 v8, 1, v4
	s_wait_alu 0xfffd
	v_dual_cndmask_b32 v7, v4, v8 :: v_dual_mov_b32 v8, v3
.LBB0_6:                                ;   in Loop: Header=BB0_2 Depth=1
	s_wait_alu 0xfffe
	s_or_b32 exec_lo, exec_lo, s2
	s_load_b64 s[22:23], s[14:15], 0x0
	s_delay_alu instid0(VALU_DEP_1)
	v_mul_lo_u32 v4, v8, s20
	v_mul_lo_u32 v11, v7, s21
	v_mad_co_u64_u32 v[9:10], null, v7, s20, 0
	s_add_nc_u64 s[16:17], s[16:17], 1
	s_add_nc_u64 s[14:15], s[14:15], 8
	s_wait_alu 0xfffe
	v_cmp_ge_u64_e64 s2, s[16:17], s[6:7]
	s_add_nc_u64 s[18:19], s[18:19], 8
	s_delay_alu instid0(VALU_DEP_2) | instskip(NEXT) | instid1(VALU_DEP_3)
	v_add3_u32 v4, v10, v11, v4
	v_sub_co_u32 v5, vcc_lo, v5, v9
	s_wait_alu 0xfffd
	s_delay_alu instid0(VALU_DEP_2) | instskip(SKIP_3) | instid1(VALU_DEP_2)
	v_sub_co_ci_u32_e32 v4, vcc_lo, v6, v4, vcc_lo
	s_and_b32 vcc_lo, exec_lo, s2
	s_wait_kmcnt 0x0
	v_mul_lo_u32 v6, s23, v5
	v_mul_lo_u32 v4, s22, v4
	v_mad_co_u64_u32 v[1:2], null, s22, v5, v[1:2]
	s_delay_alu instid0(VALU_DEP_1)
	v_add3_u32 v2, v6, v2, v4
	s_wait_alu 0xfffe
	s_cbranch_vccnz .LBB0_9
; %bb.7:                                ;   in Loop: Header=BB0_2 Depth=1
	v_dual_mov_b32 v5, v7 :: v_dual_mov_b32 v6, v8
	s_branch .LBB0_2
.LBB0_8:
	v_dual_mov_b32 v8, v6 :: v_dual_mov_b32 v7, v5
.LBB0_9:
	s_lshl_b64 s[2:3], s[6:7], 3
	v_mul_hi_u32 v3, 0x4ec4ec5, v0
	s_wait_alu 0xfffe
	s_add_nc_u64 s[2:3], s[12:13], s[2:3]
                                        ; implicit-def: $vgpr20
                                        ; implicit-def: $vgpr14
                                        ; implicit-def: $vgpr17
	s_load_b64 s[2:3], s[2:3], 0x0
	s_load_b64 s[0:1], s[0:1], 0x20
	s_delay_alu instid0(VALU_DEP_1) | instskip(NEXT) | instid1(VALU_DEP_1)
	v_mul_u32_u24_e32 v3, 52, v3
	v_sub_nc_u32_e32 v16, v0, v3
	s_delay_alu instid0(VALU_DEP_1)
	v_add_nc_u32_e32 v18, 52, v16
	v_add_nc_u32_e32 v19, 0x68, v16
	s_wait_kmcnt 0x0
	v_mul_lo_u32 v4, s2, v8
	v_mul_lo_u32 v5, s3, v7
	v_mad_co_u64_u32 v[1:2], null, s2, v7, v[1:2]
	v_cmp_gt_u64_e32 vcc_lo, s[0:1], v[7:8]
	v_cmp_le_u64_e64 s0, s[0:1], v[7:8]
                                        ; implicit-def: $sgpr2
	s_delay_alu instid0(VALU_DEP_3) | instskip(NEXT) | instid1(VALU_DEP_2)
	v_add3_u32 v2, v5, v2, v4
	s_and_saveexec_b32 s1, s0
	s_wait_alu 0xfffe
	s_xor_b32 s0, exec_lo, s1
; %bb.10:
	v_add_nc_u32_e32 v20, 52, v16
	v_add_nc_u32_e32 v14, 0x68, v16
	;; [unrolled: 1-line block ×3, first 2 shown]
	s_mov_b32 s2, 0
; %bb.11:
	s_wait_alu 0xfffe
	s_or_saveexec_b32 s1, s0
	v_lshlrev_b64_e32 v[0:1], 2, v[1:2]
	v_mov_b32_e32 v25, s2
                                        ; implicit-def: $vgpr32
                                        ; implicit-def: $vgpr31
                                        ; implicit-def: $vgpr27
                                        ; implicit-def: $vgpr26
                                        ; implicit-def: $vgpr22
                                        ; implicit-def: $vgpr21
                                        ; implicit-def: $vgpr13
                                        ; implicit-def: $vgpr11
                                        ; implicit-def: $vgpr9
                                        ; implicit-def: $vgpr7
                                        ; implicit-def: $vgpr4
                                        ; implicit-def: $vgpr2
                                        ; implicit-def: $vgpr5
                                        ; implicit-def: $vgpr3
                                        ; implicit-def: $vgpr10
                                        ; implicit-def: $vgpr8
                                        ; implicit-def: $vgpr15
                                        ; implicit-def: $vgpr12
                                        ; implicit-def: $vgpr24
                                        ; implicit-def: $vgpr23
                                        ; implicit-def: $vgpr29
                                        ; implicit-def: $vgpr28
                                        ; implicit-def: $vgpr30
                                        ; implicit-def: $vgpr6
	s_wait_alu 0xfffe
	s_xor_b32 exec_lo, exec_lo, s1
	s_cbranch_execz .LBB0_13
; %bb.12:
	v_mad_co_u64_u32 v[2:3], null, s8, v16, 0
	v_mad_co_u64_u32 v[4:5], null, s8, v18, 0
	;; [unrolled: 1-line block ×3, first 2 shown]
	v_add_nc_u32_e32 v17, 0x9c, v16
	v_add_co_u32 v15, s0, s10, v0
	v_add_nc_u32_e32 v20, 0xd0, v16
	v_mad_co_u64_u32 v[8:9], null, s9, v16, v[3:4]
	v_mad_co_u64_u32 v[9:10], null, s9, v18, v[5:6]
	v_mov_b32_e32 v3, v7
	v_mad_co_u64_u32 v[10:11], null, s8, v17, 0
	v_add_nc_u32_e32 v28, 0x138, v16
	s_wait_alu 0xf1ff
	v_add_co_ci_u32_e64 v41, s0, s11, v1, s0
	v_mad_co_u64_u32 v[12:13], null, s9, v19, v[3:4]
	v_mov_b32_e32 v3, v8
	v_mov_b32_e32 v5, v9
	v_mad_co_u64_u32 v[8:9], null, s8, v20, 0
	v_mad_co_u64_u32 v[22:23], null, s8, v28, 0
	v_dual_mov_b32 v7, v12 :: v_dual_add_nc_u32 v12, 0x104, v16
	v_lshlrev_b64_e32 v[13:14], 2, v[2:3]
	v_lshlrev_b64_e32 v[2:3], 2, v[4:5]
	v_mov_b32_e32 v4, v11
	s_delay_alu instid0(VALU_DEP_4) | instskip(SKIP_2) | instid1(VALU_DEP_4)
	v_lshlrev_b64_e32 v[6:7], 2, v[6:7]
	v_add_nc_u32_e32 v29, 0x16c, v16
	v_add_nc_u32_e32 v42, 0x270, v16
	v_mad_co_u64_u32 v[4:5], null, s9, v17, v[4:5]
	v_mov_b32_e32 v5, v9
	v_add_co_u32 v2, s0, v15, v2
	s_wait_alu 0xf1ff
	v_add_co_ci_u32_e64 v3, s0, v41, v3, s0
	v_mad_co_u64_u32 v[24:25], null, s8, v29, 0
	v_mov_b32_e32 v11, v4
	v_mad_co_u64_u32 v[4:5], null, s9, v20, v[5:6]
	v_mad_co_u64_u32 v[20:21], null, s8, v12, 0
	v_add_co_u32 v5, s0, v15, v6
	s_wait_alu 0xf1ff
	v_add_co_ci_u32_e64 v6, s0, v41, v7, s0
	s_delay_alu instid0(VALU_DEP_4) | instskip(SKIP_2) | instid1(VALU_DEP_3)
	v_mov_b32_e32 v9, v4
	v_mad_co_u64_u32 v[39:40], null, s8, v42, 0
	v_mov_b32_e32 v4, v21
	v_lshlrev_b64_e32 v[7:8], 2, v[8:9]
	v_mov_b32_e32 v9, v25
	s_delay_alu instid0(VALU_DEP_3) | instskip(SKIP_2) | instid1(VALU_DEP_3)
	v_mad_co_u64_u32 v[26:27], null, s9, v12, v[4:5]
	v_add_nc_u32_e32 v12, 0x1d4, v16
	v_lshlrev_b64_e32 v[10:11], 2, v[10:11]
	v_dual_mov_b32 v4, v23 :: v_dual_mov_b32 v21, v26
	s_delay_alu instid0(VALU_DEP_2) | instskip(NEXT) | instid1(VALU_DEP_2)
	v_add_co_u32 v10, s0, v15, v10
	v_mad_co_u64_u32 v[25:26], null, s9, v28, v[4:5]
	s_wait_alu 0xf1ff
	s_delay_alu instid0(VALU_DEP_4) | instskip(NEXT) | instid1(VALU_DEP_3)
	v_add_co_ci_u32_e64 v11, s0, v41, v11, s0
	v_mad_co_u64_u32 v[26:27], null, s9, v29, v[9:10]
	v_add_nc_u32_e32 v9, 0x1a0, v16
	v_add_co_u32 v7, s0, v15, v7
	v_mov_b32_e32 v23, v25
	s_wait_alu 0xf1ff
	v_add_co_ci_u32_e64 v8, s0, v41, v8, s0
	v_mad_co_u64_u32 v[27:28], null, s8, v9, 0
	v_dual_mov_b32 v25, v26 :: v_dual_add_nc_u32 v26, 0x208, v16
	s_delay_alu instid0(VALU_DEP_2) | instskip(NEXT) | instid1(VALU_DEP_1)
	v_mov_b32_e32 v4, v28
	v_mad_co_u64_u32 v[31:32], null, s9, v9, v[4:5]
	s_delay_alu instid0(VALU_DEP_3) | instskip(NEXT) | instid1(VALU_DEP_2)
	v_mad_co_u64_u32 v[32:33], null, s8, v26, 0
	v_mov_b32_e32 v28, v31
	v_lshlrev_b64_e32 v[20:21], 2, v[20:21]
	s_delay_alu instid0(VALU_DEP_3) | instskip(NEXT) | instid1(VALU_DEP_2)
	v_mov_b32_e32 v9, v33
	v_add_co_u32 v29, s0, v15, v20
	s_wait_alu 0xf1ff
	s_delay_alu instid0(VALU_DEP_3) | instskip(SKIP_4) | instid1(VALU_DEP_4)
	v_add_co_ci_u32_e64 v30, s0, v41, v21, s0
	v_lshlrev_b64_e32 v[20:21], 2, v[22:23]
	v_lshlrev_b64_e32 v[22:23], 2, v[24:25]
	v_mad_co_u64_u32 v[24:25], null, s8, v12, 0
	v_mad_co_u64_u32 v[36:37], null, s9, v26, v[9:10]
	v_add_co_u32 v34, s0, v15, v20
	s_wait_alu 0xf1ff
	v_add_co_ci_u32_e64 v35, s0, v41, v21, s0
	s_delay_alu instid0(VALU_DEP_4) | instskip(SKIP_3) | instid1(VALU_DEP_3)
	v_mov_b32_e32 v4, v25
	v_add_co_u32 v22, s0, v15, v22
	s_wait_alu 0xf1ff
	v_add_co_ci_u32_e64 v23, s0, v41, v23, s0
	v_mad_co_u64_u32 v[20:21], null, s9, v12, v[4:5]
	v_add_nc_u32_e32 v12, 0x23c, v16
	s_clause 0x6
	global_load_b32 v31, v[2:3], off
	global_load_b32 v26, v[5:6], off
	;; [unrolled: 1-line block ×7, first 2 shown]
	v_lshlrev_b64_e32 v[5:6], 2, v[27:28]
	v_mad_co_u64_u32 v[37:38], null, s8, v12, 0
	s_delay_alu instid0(VALU_DEP_1) | instskip(NEXT) | instid1(VALU_DEP_1)
	v_mov_b32_e32 v4, v38
	v_mad_co_u64_u32 v[8:9], null, s9, v12, v[4:5]
	v_mov_b32_e32 v4, v40
	v_add_co_u32 v5, s0, v15, v5
	v_mov_b32_e32 v25, v20
	s_wait_alu 0xf1ff
	v_add_co_ci_u32_e64 v6, s0, v41, v6, s0
	v_mov_b32_e32 v38, v8
	v_mad_co_u64_u32 v[22:23], null, s9, v42, v[4:5]
	v_mov_b32_e32 v33, v36
	v_lshlrev_b64_e32 v[9:10], 2, v[24:25]
	s_delay_alu instid0(VALU_DEP_4)
	v_lshlrev_b64_e32 v[27:28], 2, v[37:38]
	v_mov_b32_e32 v20, v18
	v_mov_b32_e32 v40, v22
	v_lshlrev_b64_e32 v[23:24], 2, v[32:33]
	v_add_co_u32 v9, s0, v15, v9
	s_wait_alu 0xf1ff
	v_add_co_ci_u32_e64 v10, s0, v41, v10, s0
	s_delay_alu instid0(VALU_DEP_3)
	v_add_co_u32 v22, s0, v15, v23
	s_wait_alu 0xf1ff
	v_add_co_ci_u32_e64 v23, s0, v41, v24, s0
	v_lshlrev_b64_e32 v[24:25], 2, v[39:40]
	v_add_co_u32 v27, s0, v15, v27
	s_wait_alu 0xf1ff
	v_add_co_ci_u32_e64 v28, s0, v41, v28, s0
	s_delay_alu instid0(VALU_DEP_3)
	v_add_co_u32 v24, s0, v15, v24
	s_wait_alu 0xf1ff
	v_add_co_ci_u32_e64 v25, s0, v41, v25, s0
	v_add_co_u32 v4, s0, v15, v13
	s_clause 0x4
	global_load_b32 v8, v[5:6], off
	global_load_b32 v12, v[9:10], off
	;; [unrolled: 1-line block ×5, first 2 shown]
	s_wait_alu 0xf1ff
	v_add_co_ci_u32_e64 v5, s0, v41, v14, s0
	v_mov_b32_e32 v14, v19
	global_load_b32 v25, v[4:5], off
	s_wait_loadcnt 0xc
	v_lshrrev_b32_e32 v32, 16, v31
	s_wait_loadcnt 0xb
	v_lshrrev_b32_e32 v27, 16, v26
	;; [unrolled: 2-line block ×12, first 2 shown]
.LBB0_13:
	s_or_b32 exec_lo, exec_lo, s1
	s_wait_loadcnt 0x0
	v_lshrrev_b32_e32 v33, 16, v25
	v_add_f16_e32 v34, v31, v25
	v_add_f16_e32 v35, v31, v6
	v_sub_f16_e32 v31, v31, v6
	v_add_f16_e32 v36, v32, v30
	v_add_f16_e32 v37, v32, v33
	;; [unrolled: 1-line block ×3, first 2 shown]
	v_sub_f16_e32 v32, v32, v30
	v_mul_f16_e32 v40, 0x388b, v35
	v_mul_f16_e32 v41, 0xba95, v31
	v_add_f16_e32 v37, v27, v37
	v_add_f16_e32 v34, v21, v34
	v_mul_f16_e32 v42, 0x2fb7, v35
	v_mul_f16_e32 v43, 0xbbf1, v31
	v_mul_f16_e32 v44, 0xb5ac, v35
	v_add_f16_e32 v37, v22, v37
	v_add_f16_e32 v34, v11, v34
	v_mul_f16_e32 v45, 0xbb7b, v31
	;; [unrolled: 5-line block ×3, first 2 shown]
	v_mul_f16_e32 v47, 0xb94e, v31
	v_fmamk_f16 v50, v32, 0x3a95, v40
	v_add_f16_e32 v37, v9, v37
	v_add_f16_e32 v34, v2, v34
	v_fmamk_f16 v51, v36, 0x388b, v41
	v_fmac_f16_e32 v40, 0xba95, v32
	v_fma_f16 v41, v36, 0x388b, -v41
	v_add_f16_e32 v37, v4, v37
	v_add_f16_e32 v34, v3, v34
	v_fmamk_f16 v52, v32, 0x3bf1, v42
	v_fmamk_f16 v53, v36, 0x2fb7, v43
	;; [unrolled: 1-line block ×3, first 2 shown]
	v_add_f16_e32 v37, v5, v37
	v_add_f16_e32 v34, v8, v34
	v_fmamk_f16 v55, v36, 0xb5ac, v45
	v_mul_f16_e32 v35, 0xbbc4, v35
	v_mul_f16_e32 v31, 0xb3a8, v31
	v_add_f16_e32 v37, v10, v37
	v_add_f16_e32 v34, v12, v34
	;; [unrolled: 1-line block ×3, first 2 shown]
	v_sub_f16_e32 v26, v26, v28
	v_fmamk_f16 v48, v32, 0x3770, v38
	v_add_f16_e32 v37, v15, v37
	v_add_f16_e32 v34, v23, v34
	v_fmamk_f16 v49, v36, 0x3b15, v39
	v_fmac_f16_e32 v38, 0xb770, v32
	v_fma_f16 v39, v36, 0x3b15, -v39
	v_add_f16_e32 v37, v24, v37
	v_add_f16_e32 v34, v28, v34
	v_fmac_f16_e32 v42, 0xbbf1, v32
	v_fma_f16 v43, v36, 0x2fb7, -v43
	v_fmac_f16_e32 v44, 0xbb7b, v32
	v_add_f16_e32 v37, v29, v37
	v_add_f16_e32 v6, v6, v34
	v_fma_f16 v45, v36, 0xb5ac, -v45
	v_add_f16_e32 v34, v40, v25
	v_add_f16_e32 v40, v52, v25
	;; [unrolled: 1-line block ×3, first 2 shown]
	v_and_b32_e32 v6, 0xffff, v6
	v_add_f16_e32 v37, v41, v33
	v_add_f16_e32 v41, v53, v33
	;; [unrolled: 1-line block ×3, first 2 shown]
	v_lshlrev_b32_e32 v30, 16, v30
	v_add_f16_e32 v53, v55, v33
	v_fmamk_f16 v54, v36, 0xb9fd, v47
	v_fma_f16 v47, v36, 0xb9fd, -v47
	v_fmamk_f16 v55, v32, 0x33a8, v35
	v_or_b32_e32 v6, v30, v6
	v_fmamk_f16 v30, v32, 0x394e, v46
	v_fmac_f16_e32 v46, 0xb94e, v32
	v_fmamk_f16 v57, v36, 0xbbc4, v31
	v_sub_f16_e32 v58, v27, v29
	v_mul_f16_e32 v59, 0x388b, v56
	v_fmac_f16_e32 v35, 0xb3a8, v32
	v_fma_f16 v28, v36, 0xbbc4, -v31
	v_add_f16_e32 v27, v27, v29
	v_mul_f16_e32 v29, 0xba95, v26
	v_add_f16_e32 v48, v48, v25
	v_add_f16_e32 v49, v49, v33
	;; [unrolled: 1-line block ×16, first 2 shown]
	v_fmamk_f16 v31, v58, 0x3a95, v59
	v_add_f16_e32 v25, v35, v25
	v_add_f16_e32 v28, v28, v33
	v_mul_f16_e32 v32, 0xb5ac, v56
	v_fmamk_f16 v33, v27, 0x388b, v29
	v_fma_f16 v29, v27, 0x388b, -v29
	v_mul_f16_e32 v35, 0xbb7b, v26
	v_add_f16_e32 v31, v31, v48
	v_fmamk_f16 v36, v58, 0x3b7b, v32
	v_add_f16_e32 v33, v33, v49
	v_add_f16_e32 v29, v29, v39
	v_fmamk_f16 v39, v27, 0xb5ac, v35
	v_mul_f16_e32 v48, 0xbbc4, v56
	v_fmac_f16_e32 v32, 0xbb7b, v58
	v_fma_f16 v35, v27, 0xb5ac, -v35
	v_mul_f16_e32 v49, 0xb3a8, v26
	v_add_f16_e32 v36, v36, v50
	v_fmamk_f16 v50, v58, 0x33a8, v48
	v_add_f16_e32 v32, v32, v34
	v_add_f16_e32 v34, v35, v37
	v_mul_f16_e32 v35, 0xb9fd, v56
	v_fmamk_f16 v37, v27, 0xbbc4, v49
	v_add_f16_e32 v40, v50, v40
	v_fmac_f16_e32 v48, 0xb3a8, v58
	v_fma_f16 v49, v27, 0xbbc4, -v49
	v_fmamk_f16 v50, v58, 0xb94e, v35
	v_add_f16_e32 v37, v37, v41
	v_mul_f16_e32 v41, 0x394e, v26
	v_add_f16_e32 v42, v48, v42
	v_add_f16_e32 v43, v49, v43
	;; [unrolled: 1-line block ×3, first 2 shown]
	v_mul_f16_e32 v49, 0x2fb7, v56
	v_fmamk_f16 v50, v27, 0xb9fd, v41
	v_fma_f16 v41, v27, 0xb9fd, -v41
	v_add_f16_e32 v39, v39, v51
	v_fmac_f16_e32 v35, 0x394e, v58
	v_mul_f16_e32 v51, 0x3bf1, v26
	v_fmamk_f16 v52, v58, 0xbbf1, v49
	v_add_f16_e32 v41, v41, v45
	v_mul_f16_e32 v45, 0x3b15, v56
	v_fmac_f16_e32 v49, 0x3bf1, v58
	v_add_f16_e32 v35, v35, v44
	v_fmamk_f16 v44, v27, 0x2fb7, v51
	v_add_f16_e32 v30, v52, v30
	v_fma_f16 v51, v27, 0x2fb7, -v51
	v_fmamk_f16 v52, v58, 0xb770, v45
	v_add_f16_e32 v46, v49, v46
	v_add_f16_e32 v49, v21, v23
	v_add_f16_e32 v44, v44, v54
	v_mul_f16_e32 v26, 0x3770, v26
	v_add_f16_e32 v47, v51, v47
	v_add_f16_e32 v51, v52, v55
	v_sub_f16_e32 v52, v22, v24
	v_mul_f16_e32 v54, 0x2fb7, v49
	v_sub_f16_e32 v21, v21, v23
	v_add_f16_e32 v50, v50, v53
	v_fmamk_f16 v53, v27, 0x3b15, v26
	v_fma_f16 v23, v27, 0x3b15, -v26
	v_fmamk_f16 v26, v52, 0x3bf1, v54
	v_add_f16_e32 v22, v22, v24
	v_mul_f16_e32 v24, 0xbbf1, v21
	v_fmac_f16_e32 v59, 0xba95, v58
	v_add_f16_e32 v23, v23, v28
	v_add_f16_e32 v26, v26, v31
	v_mul_f16_e32 v31, 0xb3a8, v21
	v_fmamk_f16 v28, v22, 0x2fb7, v24
	v_fma_f16 v24, v22, 0x2fb7, -v24
	v_add_f16_e32 v38, v59, v38
	v_fmac_f16_e32 v45, 0x3770, v58
	v_mul_f16_e32 v27, 0xbbc4, v49
	v_fmac_f16_e32 v54, 0xbbf1, v52
	v_add_f16_e32 v24, v24, v29
	v_fmamk_f16 v29, v22, 0xbbc4, v31
	v_add_f16_e32 v25, v45, v25
	v_fmamk_f16 v45, v52, 0x33a8, v27
	v_add_f16_e32 v28, v28, v33
	v_add_f16_e32 v33, v54, v38
	v_mul_f16_e32 v38, 0xb5ac, v49
	v_fmac_f16_e32 v27, 0xb3a8, v52
	v_fma_f16 v31, v22, 0xbbc4, -v31
	v_add_f16_e32 v29, v29, v39
	v_mul_f16_e32 v39, 0x3b7b, v21
	v_add_f16_e32 v36, v45, v36
	v_fmamk_f16 v45, v52, 0xbb7b, v38
	v_add_f16_e32 v27, v27, v32
	v_add_f16_e32 v31, v31, v34
	v_mul_f16_e32 v32, 0x3b15, v49
	v_fmamk_f16 v34, v22, 0xb5ac, v39
	v_add_f16_e32 v40, v45, v40
	v_fmac_f16_e32 v38, 0x3b7b, v52
	v_fma_f16 v39, v22, 0xb5ac, -v39
	v_fmamk_f16 v45, v52, 0xb770, v32
	v_add_f16_e32 v34, v34, v37
	v_mul_f16_e32 v37, 0x3770, v21
	v_add_f16_e32 v38, v38, v42
	v_add_f16_e32 v39, v39, v43
	;; [unrolled: 1-line block ×3, first 2 shown]
	v_mul_f16_e32 v43, 0x388b, v49
	v_fmamk_f16 v45, v22, 0x3b15, v37
	v_fmac_f16_e32 v32, 0x3770, v52
	v_mul_f16_e32 v48, 0xba95, v21
	v_fma_f16 v37, v22, 0x3b15, -v37
	v_fmamk_f16 v54, v52, 0x3a95, v43
	v_fmac_f16_e32 v43, 0xba95, v52
	v_add_f16_e32 v32, v32, v35
	v_fmamk_f16 v35, v22, 0x388b, v48
	v_add_f16_e32 v37, v37, v41
	v_mul_f16_e32 v41, 0xb9fd, v49
	v_mul_f16_e32 v21, 0xb94e, v21
	v_add_f16_e32 v43, v43, v46
	v_add_f16_e32 v35, v35, v44
	v_fma_f16 v44, v22, 0x388b, -v48
	v_fmamk_f16 v48, v52, 0x394e, v41
	v_add_f16_e32 v46, v11, v12
	v_add_f16_e32 v45, v45, v50
	v_sub_f16_e32 v11, v11, v12
	v_add_f16_e32 v44, v44, v47
	v_add_f16_e32 v47, v48, v51
	v_sub_f16_e32 v48, v13, v15
	v_mul_f16_e32 v50, 0xb5ac, v46
	v_fma_f16 v12, v22, 0xb9fd, -v21
	v_fmamk_f16 v49, v22, 0xb9fd, v21
	v_fmac_f16_e32 v41, 0xb94e, v52
	v_add_f16_e32 v13, v13, v15
	v_fmamk_f16 v21, v48, 0x3b7b, v50
	v_mul_f16_e32 v15, 0xbb7b, v11
	v_add_f16_e32 v12, v12, v23
	v_mul_f16_e32 v23, 0xb9fd, v46
	v_add_f16_e32 v22, v41, v25
	v_add_f16_e32 v21, v21, v26
	v_fmamk_f16 v25, v13, 0xb5ac, v15
	v_fmac_f16_e32 v50, 0xbb7b, v48
	v_fma_f16 v15, v13, 0xb5ac, -v15
	v_mul_f16_e32 v26, 0x394e, v11
	v_fmamk_f16 v41, v48, 0xb94e, v23
	v_add_f16_e32 v25, v25, v28
	v_add_f16_e32 v28, v50, v33
	;; [unrolled: 1-line block ×3, first 2 shown]
	v_fmamk_f16 v24, v13, 0xb9fd, v26
	v_add_f16_e32 v33, v41, v36
	v_mul_f16_e32 v36, 0x3b15, v46
	v_fmac_f16_e32 v23, 0x394e, v48
	v_fma_f16 v26, v13, 0xb9fd, -v26
	v_add_f16_e32 v24, v24, v29
	v_mul_f16_e32 v29, 0x3770, v11
	v_fmamk_f16 v41, v48, 0xb770, v36
	v_add_f16_e32 v23, v23, v27
	v_mul_f16_e32 v27, 0x2fb7, v46
	v_add_f16_e32 v26, v26, v31
	v_fmamk_f16 v31, v13, 0x3b15, v29
	v_add_f16_e32 v40, v41, v40
	v_fmac_f16_e32 v36, 0x3770, v48
	v_fma_f16 v29, v13, 0x3b15, -v29
	v_fmamk_f16 v41, v48, 0x3bf1, v27
	v_fmac_f16_e32 v27, 0xbbf1, v48
	v_add_f16_e32 v31, v31, v34
	v_add_f16_e32 v36, v36, v38
	;; [unrolled: 1-line block ×4, first 2 shown]
	v_mul_f16_e32 v39, 0xbbc4, v46
	v_mul_f16_e32 v42, 0x33a8, v11
	;; [unrolled: 1-line block ×3, first 2 shown]
	v_add_f16_e32 v27, v27, v32
	v_mul_f16_e32 v11, 0x3a95, v11
	v_fmamk_f16 v50, v48, 0xb3a8, v39
	v_fmamk_f16 v32, v13, 0xbbc4, v42
	v_fmac_f16_e32 v39, 0x33a8, v48
	v_fmamk_f16 v41, v13, 0x2fb7, v34
	v_fma_f16 v34, v13, 0x2fb7, -v34
	v_add_f16_e32 v53, v53, v57
	v_add_f16_e32 v32, v32, v35
	v_fma_f16 v35, v13, 0xbbc4, -v42
	v_add_f16_e32 v39, v39, v43
	v_add_f16_e32 v43, v7, v8
	;; [unrolled: 1-line block ×3, first 2 shown]
	v_mul_f16_e32 v37, 0x388b, v46
	v_add_f16_e32 v35, v35, v44
	v_sub_f16_e32 v44, v9, v10
	v_mul_f16_e32 v46, 0xb9fd, v43
	v_sub_f16_e32 v7, v7, v8
	v_add_f16_e32 v41, v41, v45
	v_fmamk_f16 v42, v48, 0xba95, v37
	v_fmamk_f16 v45, v13, 0x388b, v11
	v_fmac_f16_e32 v37, 0x3a95, v48
	v_fma_f16 v8, v13, 0x388b, -v11
	v_fmamk_f16 v11, v44, 0x394e, v46
	v_add_f16_e32 v9, v9, v10
	v_mul_f16_e32 v10, 0xb94e, v7
	v_add_f16_e32 v13, v37, v22
	v_add_f16_e32 v8, v8, v12
	;; [unrolled: 1-line block ×3, first 2 shown]
	v_mul_f16_e32 v12, 0x2fb7, v43
	v_fmamk_f16 v21, v9, 0xb9fd, v10
	v_fma_f16 v10, v9, 0xb9fd, -v10
	v_mul_f16_e32 v22, 0x3bf1, v7
	v_fmac_f16_e32 v46, 0xb94e, v44
	v_fmamk_f16 v37, v44, 0xbbf1, v12
	v_add_f16_e32 v21, v21, v25
	v_add_f16_e32 v10, v10, v15
	v_fmamk_f16 v15, v9, 0x2fb7, v22
	v_add_f16_e32 v25, v46, v28
	v_add_f16_e32 v28, v37, v33
	v_mul_f16_e32 v33, 0x388b, v43
	v_fmac_f16_e32 v12, 0x3bf1, v44
	v_fma_f16 v22, v9, 0x2fb7, -v22
	v_add_f16_e32 v15, v15, v24
	v_mul_f16_e32 v24, 0xba95, v7
	v_fmamk_f16 v37, v44, 0x3a95, v33
	v_add_f16_e32 v12, v12, v23
	v_add_f16_e32 v22, v22, v26
	v_mul_f16_e32 v23, 0xbbc4, v43
	v_fmamk_f16 v26, v9, 0x388b, v24
	v_add_f16_e32 v37, v37, v40
	v_fmac_f16_e32 v33, 0xba95, v44
	v_fma_f16 v24, v9, 0x388b, -v24
	v_fmamk_f16 v40, v44, 0xb3a8, v23
	v_add_f16_e32 v26, v26, v31
	v_mul_f16_e32 v31, 0x33a8, v7
	v_add_f16_e32 v33, v33, v36
	v_add_f16_e32 v24, v24, v29
	;; [unrolled: 1-line block ×3, first 2 shown]
	v_mul_f16_e32 v36, 0x3b15, v43
	v_fmamk_f16 v38, v9, 0xbbc4, v31
	v_fmac_f16_e32 v23, 0x33a8, v44
	v_mul_f16_e32 v40, 0x3770, v7
	v_fma_f16 v31, v9, 0xbbc4, -v31
	v_fmamk_f16 v46, v44, 0xb770, v36
	v_fmac_f16_e32 v36, 0x3770, v44
	v_add_f16_e32 v23, v23, v27
	v_fmamk_f16 v27, v9, 0x3b15, v40
	v_add_f16_e32 v31, v31, v34
	v_mul_f16_e32 v34, 0xb5ac, v43
	v_add_f16_e32 v42, v42, v47
	v_mul_f16_e32 v7, 0xbb7b, v7
	v_add_f16_e32 v27, v27, v32
	v_fma_f16 v32, v9, 0x3b15, -v40
	v_fmamk_f16 v40, v44, 0x3b7b, v34
	v_add_f16_e32 v36, v36, v39
	v_add_f16_e32 v39, v2, v3
	v_sub_f16_e32 v2, v2, v3
	v_add_f16_e32 v32, v32, v35
	v_add_f16_e32 v35, v40, v42
	v_sub_f16_e32 v40, v4, v5
	v_mul_f16_e32 v42, 0xbbc4, v39
	v_fma_f16 v3, v9, 0xb5ac, -v7
	v_add_f16_e32 v38, v38, v41
	v_fmamk_f16 v41, v9, 0xb5ac, v7
	v_fmac_f16_e32 v34, 0xbb7b, v44
	v_fmamk_f16 v7, v40, 0x33a8, v42
	v_add_f16_e32 v4, v4, v5
	v_mul_f16_e32 v5, 0xb3a8, v2
	v_add_f16_e32 v3, v3, v8
	v_mul_f16_e32 v8, 0x3b15, v39
	v_add_f16_e32 v9, v34, v13
	v_add_f16_e32 v7, v7, v11
	v_fmamk_f16 v11, v4, 0xbbc4, v5
	v_fmac_f16_e32 v42, 0xb3a8, v40
	v_fma_f16 v5, v4, 0xbbc4, -v5
	v_mul_f16_e32 v13, 0x3770, v2
	v_fmamk_f16 v34, v40, 0xb770, v8
	v_add_f16_e32 v11, v11, v21
	v_add_f16_e32 v21, v42, v25
	;; [unrolled: 1-line block ×3, first 2 shown]
	v_fmamk_f16 v10, v4, 0x3b15, v13
	v_add_f16_e32 v25, v34, v28
	v_fmac_f16_e32 v8, 0x3770, v40
	v_mul_f16_e32 v28, 0xb9fd, v39
	v_fma_f16 v13, v4, 0x3b15, -v13
	v_add_f16_e32 v10, v10, v15
	v_mul_f16_e32 v15, 0xb94e, v2
	v_add_f16_e32 v8, v8, v12
	v_fmamk_f16 v12, v40, 0x394e, v28
	v_add_f16_e32 v13, v13, v22
	v_mul_f16_e32 v22, 0x388b, v39
	v_fmac_f16_e32 v28, 0xb94e, v40
	v_fmamk_f16 v34, v4, 0xb9fd, v15
	v_add_f16_e32 v12, v12, v37
	v_fma_f16 v15, v4, 0xb9fd, -v15
	v_fmamk_f16 v37, v40, 0xba95, v22
	v_add_f16_e32 v28, v28, v33
	v_mul_f16_e32 v33, 0x3a95, v2
	v_add_f16_e32 v26, v34, v26
	v_add_f16_e32 v15, v15, v24
	;; [unrolled: 1-line block ×3, first 2 shown]
	v_mul_f16_e32 v34, 0xbb7b, v2
	v_fmamk_f16 v37, v4, 0x388b, v33
	v_fmac_f16_e32 v22, 0x3a95, v40
	v_fma_f16 v33, v4, 0x388b, -v33
	v_mul_f16_e32 v29, 0xb5ac, v39
	v_fmamk_f16 v43, v4, 0xb5ac, v34
	v_mul_f16_e32 v2, 0x3bf1, v2
	v_add_f16_e32 v22, v22, v23
	v_add_f16_e32 v23, v33, v31
	v_fma_f16 v31, v4, 0xb5ac, -v34
	v_and_b32_e32 v34, 0xff, v16
	v_fmamk_f16 v42, v40, 0x3b7b, v29
	v_fmac_f16_e32 v29, 0xbb7b, v40
	v_mul_f16_e32 v33, 0x2fb7, v39
	v_add_f16_e32 v31, v31, v32
	v_mul_lo_u16 v34, 0x4f, v34
	v_add_f16_e32 v30, v54, v30
	v_add_f16_e32 v29, v29, v36
	v_fmamk_f16 v32, v40, 0xbbf1, v33
	v_fmamk_f16 v36, v4, 0x2fb7, v2
	v_fmac_f16_e32 v33, 0x3bf1, v40
	v_fma_f16 v4, v4, 0x2fb7, -v2
	v_lshrrev_b16 v2, 10, v34
	v_add_f16_e32 v49, v49, v53
	v_add_f16_e32 v37, v37, v38
	;; [unrolled: 1-line block ×4, first 2 shown]
	v_mul_lo_u16 v33, v2, 13
	v_add_f16_e32 v45, v45, v49
	v_add_f16_e32 v4, v4, v3
	v_pack_b32_f16 v7, v7, v11
	v_pack_b32_f16 v11, v24, v37
	v_sub_nc_u16 v24, v16, v33
	v_add_f16_e32 v30, v46, v30
	v_add_f16_e32 v41, v41, v45
	v_pack_b32_f16 v9, v9, v4
	v_add_f16_e32 v27, v43, v27
	v_and_b32_e32 v4, 0xff, v24
	v_add_f16_e32 v30, v42, v30
	v_add_f16_e32 v32, v32, v35
	;; [unrolled: 1-line block ×3, first 2 shown]
	v_mad_u32_u24 v3, v16, 52, 0
	v_pack_b32_f16 v8, v8, v13
	v_mul_u32_u24_e32 v13, 12, v4
	v_pack_b32_f16 v10, v25, v10
	v_pack_b32_f16 v12, v12, v26
	;; [unrolled: 1-line block ×8, first 2 shown]
	ds_store_b32 v3, v6
	ds_store_2addr_b32 v3, v7, v10 offset0:1 offset1:2
	ds_store_2addr_b32 v3, v12, v11 offset0:3 offset1:4
	;; [unrolled: 1-line block ×6, first 2 shown]
	v_lshlrev_b32_e32 v5, 2, v13
	global_wb scope:SCOPE_SE
	s_wait_dscnt 0x0
	s_barrier_signal -1
	s_barrier_wait -1
	global_inv scope:SCOPE_SE
	s_clause 0x2
	global_load_b128 v[8:11], v5, s[4:5]
	global_load_b128 v[25:28], v5, s[4:5] offset:16
	global_load_b128 v[29:32], v5, s[4:5] offset:32
	v_mad_i32_i24 v6, 0xffffffd0, v16, v3
	v_lshl_add_u32 v21, v20, 2, 0
	v_lshl_add_u32 v22, v14, 2, 0
	v_and_b32_e32 v2, 0xffff, v2
	v_lshlrev_b32_e32 v4, 2, v4
	v_add_nc_u32_e32 v5, 0x400, v6
	v_add_nc_u32_e32 v15, 0x600, v6
	;; [unrolled: 1-line block ×3, first 2 shown]
	v_mul_u32_u24_e32 v2, 0x2a4, v2
	v_cmp_gt_u32_e64 s0, 13, v16
	ds_load_2addr_b32 v[12:13], v5 offset0:4 offset1:56
	ds_load_2addr_b32 v[33:34], v5 offset0:108 offset1:160
	ds_load_2addr_b32 v[35:36], v15 offset0:84 offset1:136
	ds_load_b32 v23, v21
	ds_load_2addr_b32 v[37:38], v7 offset0:60 offset1:112
	ds_load_b32 v24, v22
	v_lshl_add_u32 v15, v17, 2, 0
	ds_load_2addr_b32 v[39:40], v6 offset1:208
	ds_load_b32 v41, v15
	v_add3_u32 v2, 0, v2, v4
	global_wb scope:SCOPE_SE
	s_wait_loadcnt_dscnt 0x0
	s_barrier_signal -1
	s_barrier_wait -1
	global_inv scope:SCOPE_SE
	v_lshrrev_b32_e32 v42, 16, v12
	v_lshrrev_b32_e32 v43, 16, v13
	;; [unrolled: 1-line block ×15, first 2 shown]
	s_delay_alu instid0(VALU_DEP_4) | instskip(SKIP_1) | instid1(VALU_DEP_2)
	v_mul_f16_e32 v53, v47, v48
	v_mul_f16_e32 v47, v47, v23
	v_fma_f16 v53, v8, v23, -v53
	v_mul_f16_e32 v23, v52, v54
	v_mul_f16_e32 v52, v52, v24
	s_delay_alu instid0(VALU_DEP_4) | instskip(SKIP_1) | instid1(VALU_DEP_4)
	v_fmac_f16_e32 v47, v8, v48
	v_lshrrev_b32_e32 v8, 16, v40
	v_fma_f16 v48, v9, v24, -v23
	s_delay_alu instid0(VALU_DEP_4)
	v_fmac_f16_e32 v52, v9, v54
	v_mul_f16_e32 v9, v55, v57
	v_mul_f16_e32 v54, v55, v41
	;; [unrolled: 1-line block ×4, first 2 shown]
	v_lshrrev_b32_e32 v24, 16, v25
	v_fma_f16 v41, v10, v41, -v9
	v_lshrrev_b32_e32 v9, 16, v26
	v_fma_f16 v40, v11, v40, -v23
	v_fmac_f16_e32 v55, v11, v8
	v_mul_f16_e32 v8, v42, v24
	v_lshrrev_b32_e32 v56, 16, v27
	v_mul_f16_e32 v23, v12, v24
	v_fmac_f16_e32 v54, v10, v57
	v_mul_f16_e32 v10, v13, v9
	v_fma_f16 v24, v12, v25, -v8
	v_mul_f16_e32 v8, v43, v9
	v_mul_f16_e32 v9, v44, v56
	v_fmac_f16_e32 v23, v42, v25
	v_lshrrev_b32_e32 v25, 16, v39
	v_lshrrev_b32_e32 v57, 16, v28
	v_fma_f16 v11, v13, v26, -v8
	v_fma_f16 v12, v33, v27, -v9
	v_add_f16_e32 v8, v53, v39
	v_add_f16_e32 v9, v47, v25
	v_mul_f16_e32 v13, v33, v56
	v_fmac_f16_e32 v10, v43, v26
	v_mul_f16_e32 v26, v45, v57
	v_add_f16_e32 v8, v8, v48
	v_add_f16_e32 v9, v9, v52
	v_mul_f16_e32 v33, v34, v57
	v_fmac_f16_e32 v13, v44, v27
	v_lshrrev_b32_e32 v27, 16, v29
	v_add_f16_e32 v8, v8, v41
	v_add_f16_e32 v9, v9, v54
	v_fma_f16 v26, v34, v28, -v26
	v_fmac_f16_e32 v33, v45, v28
	v_lshrrev_b32_e32 v28, 16, v30
	v_add_f16_e32 v8, v8, v40
	v_add_f16_e32 v9, v9, v55
	v_mul_f16_e32 v42, v46, v27
	v_lshrrev_b32_e32 v43, 16, v32
	v_mul_f16_e32 v27, v35, v27
	v_add_f16_e32 v8, v8, v24
	v_add_f16_e32 v9, v9, v23
	v_fma_f16 v35, v35, v29, -v42
	v_mul_f16_e32 v42, v49, v28
	v_mul_f16_e32 v28, v36, v28
	v_lshrrev_b32_e32 v34, 16, v31
	v_add_f16_e32 v9, v9, v10
	v_fmac_f16_e32 v27, v46, v29
	v_add_f16_e32 v8, v8, v11
	v_fma_f16 v29, v36, v30, -v42
	v_fmac_f16_e32 v28, v49, v30
	v_add_f16_e32 v9, v9, v13
	v_mul_f16_e32 v30, v38, v43
	v_mul_f16_e32 v36, v50, v34
	v_add_f16_e32 v8, v8, v12
	v_mul_f16_e32 v42, v51, v43
	v_add_f16_e32 v9, v9, v33
	v_fmac_f16_e32 v30, v51, v32
	v_fma_f16 v36, v37, v31, -v36
	v_add_f16_e32 v8, v8, v26
	v_mul_f16_e32 v34, v37, v34
	v_add_f16_e32 v9, v9, v27
	v_fma_f16 v32, v38, v32, -v42
	v_sub_f16_e32 v37, v47, v30
	v_add_f16_e32 v8, v8, v35
	v_fmac_f16_e32 v34, v50, v31
	v_add_f16_e32 v9, v9, v28
	v_add_f16_e32 v31, v53, v32
	v_mul_f16_e32 v38, 0xb770, v37
	v_add_f16_e32 v8, v8, v29
	v_sub_f16_e32 v42, v53, v32
	v_add_f16_e32 v9, v9, v34
	v_sub_f16_e32 v66, v52, v34
	v_fma_f16 v44, v31, 0x3b15, -v38
	v_add_f16_e32 v8, v8, v36
	v_add_f16_e32 v43, v47, v30
	v_mul_f16_e32 v45, 0xb770, v42
	v_add_f16_e32 v9, v9, v30
	v_add_f16_e32 v30, v44, v39
	v_mul_f16_e32 v44, 0xba95, v37
	v_mul_f16_e32 v46, 0xba95, v42
	;; [unrolled: 1-line block ×10, first 2 shown]
	v_add_f16_e32 v68, v48, v36
	v_mul_f16_e32 v69, 0xba95, v66
	v_sub_f16_e32 v36, v48, v36
	v_add_f16_e32 v8, v8, v32
	v_fmamk_f16 v32, v43, 0x3b15, v45
	v_fmac_f16_e32 v38, 0x3b15, v31
	v_fma_f16 v45, v43, 0x3b15, -v45
	v_fma_f16 v47, v31, 0x388b, -v44
	v_fmamk_f16 v49, v43, 0x388b, v46
	v_fmac_f16_e32 v44, 0x388b, v31
	v_fma_f16 v46, v43, 0x388b, -v46
	v_fma_f16 v51, v31, 0x2fb7, -v50
	;; [unrolled: 4-line block ×5, first 2 shown]
	v_fmamk_f16 v67, v43, 0xbbc4, v42
	v_fmac_f16_e32 v37, 0xbbc4, v31
	v_fma_f16 v31, v43, 0xbbc4, -v42
	v_add_f16_e32 v34, v52, v34
	v_fma_f16 v42, v68, 0x388b, -v69
	v_mul_f16_e32 v43, 0xba95, v36
	v_add_f16_e32 v32, v32, v25
	v_add_f16_e32 v38, v38, v39
	;; [unrolled: 1-line block ×24, first 2 shown]
	v_fmamk_f16 v31, v34, 0x388b, v43
	v_mul_f16_e32 v39, 0xbb7b, v66
	v_fma_f16 v42, v34, 0x388b, -v43
	v_mul_f16_e32 v43, 0xbb7b, v36
	v_mul_f16_e32 v52, 0xb3a8, v66
	v_add_f16_e32 v31, v31, v32
	v_fma_f16 v32, v68, 0xb5ac, -v39
	v_add_f16_e32 v42, v42, v45
	v_fmamk_f16 v45, v34, 0xb5ac, v43
	v_fmac_f16_e32 v39, 0xb5ac, v68
	v_fma_f16 v43, v34, 0xb5ac, -v43
	v_add_f16_e32 v32, v32, v47
	v_fma_f16 v47, v68, 0xbbc4, -v52
	v_add_f16_e32 v45, v45, v49
	v_mul_f16_e32 v49, 0xb3a8, v36
	v_add_f16_e32 v39, v39, v44
	v_mul_f16_e32 v44, 0x394e, v66
	v_add_f16_e32 v43, v43, v46
	v_add_f16_e32 v46, v47, v51
	v_fmamk_f16 v47, v34, 0xbbc4, v49
	v_fmac_f16_e32 v52, 0xbbc4, v68
	v_fma_f16 v49, v34, 0xbbc4, -v49
	v_fma_f16 v51, v68, 0xb9fd, -v44
	v_mul_f16_e32 v67, 0x394e, v36
	v_add_f16_e32 v47, v47, v57
	v_add_f16_e32 v50, v52, v50
	;; [unrolled: 1-line block ×4, first 2 shown]
	v_fmamk_f16 v52, v34, 0xb9fd, v67
	v_mul_f16_e32 v53, 0x3bf1, v66
	v_fma_f16 v58, v34, 0xb9fd, -v67
	v_fmac_f16_e32 v44, 0xb9fd, v68
	v_mul_f16_e32 v57, 0x3bf1, v36
	v_add_f16_e32 v52, v52, v60
	v_fma_f16 v60, v68, 0x2fb7, -v53
	v_add_f16_e32 v58, v58, v59
	v_mul_f16_e32 v59, 0x3770, v66
	v_fmac_f16_e32 v53, 0x2fb7, v68
	v_add_f16_e32 v44, v44, v56
	v_fmamk_f16 v56, v34, 0x2fb7, v57
	v_add_f16_e32 v60, v60, v63
	v_fma_f16 v57, v34, 0x2fb7, -v57
	v_fma_f16 v63, v68, 0x3b15, -v59
	v_add_f16_e32 v53, v53, v61
	v_sub_f16_e32 v61, v54, v28
	v_add_f16_e32 v56, v56, v64
	v_mul_f16_e32 v36, 0x3770, v36
	v_add_f16_e32 v57, v57, v62
	v_add_f16_e32 v62, v63, v65
	;; [unrolled: 1-line block ×3, first 2 shown]
	v_mul_f16_e32 v65, 0xbbf1, v61
	v_sub_f16_e32 v29, v41, v29
	v_fmamk_f16 v63, v34, 0x3b15, v36
	v_fma_f16 v34, v34, 0x3b15, -v36
	v_add_f16_e32 v28, v54, v28
	v_fma_f16 v36, v64, 0x2fb7, -v65
	v_mul_f16_e32 v41, 0xbbf1, v29
	v_fmac_f16_e32 v59, 0x3b15, v68
	v_add_f16_e32 v25, v34, v25
	v_mul_f16_e32 v54, 0xb3a8, v29
	v_add_f16_e32 v30, v36, v30
	v_fmamk_f16 v34, v28, 0x2fb7, v41
	v_mul_f16_e32 v36, 0xb3a8, v61
	v_fma_f16 v41, v28, 0x2fb7, -v41
	v_add_f16_e32 v37, v59, v37
	v_mul_f16_e32 v59, 0x3b7b, v61
	v_add_f16_e32 v31, v34, v31
	v_fma_f16 v34, v64, 0xbbc4, -v36
	v_add_f16_e32 v41, v41, v42
	v_fmamk_f16 v42, v28, 0xbbc4, v54
	v_fmac_f16_e32 v36, 0xbbc4, v64
	v_add_f16_e32 v48, v63, v48
	v_add_f16_e32 v32, v34, v32
	v_fma_f16 v34, v28, 0xbbc4, -v54
	v_add_f16_e32 v42, v42, v45
	v_fma_f16 v45, v64, 0xb5ac, -v59
	v_mul_f16_e32 v54, 0x3b7b, v29
	v_add_f16_e32 v36, v36, v39
	v_mul_f16_e32 v39, 0x3770, v61
	v_add_f16_e32 v34, v34, v43
	v_add_f16_e32 v43, v45, v46
	v_fmamk_f16 v45, v28, 0xb5ac, v54
	v_fmac_f16_e32 v59, 0xb5ac, v64
	v_fma_f16 v46, v28, 0xb5ac, -v54
	v_fma_f16 v54, v64, 0x3b15, -v39
	v_mul_f16_e32 v63, 0x3770, v29
	v_add_f16_e32 v45, v45, v47
	v_add_f16_e32 v47, v59, v50
	;; [unrolled: 1-line block ×4, first 2 shown]
	v_fmamk_f16 v50, v28, 0x3b15, v63
	v_mul_f16_e32 v51, 0xba95, v61
	v_fmac_f16_e32 v39, 0x3b15, v64
	v_mul_f16_e32 v54, 0xba95, v29
	v_fma_f16 v59, v28, 0x3b15, -v63
	v_add_f16_e32 v50, v50, v52
	v_fma_f16 v52, v64, 0x388b, -v51
	v_fmac_f16_e32 v51, 0x388b, v64
	v_add_f16_e32 v39, v39, v44
	v_fmamk_f16 v44, v28, 0x388b, v54
	v_add_f16_e32 v58, v59, v58
	v_mul_f16_e32 v59, 0xb94e, v61
	v_add_f16_e32 v51, v51, v53
	v_sub_f16_e32 v53, v55, v27
	v_add_f16_e32 v52, v52, v60
	v_fma_f16 v54, v28, 0x388b, -v54
	v_mul_f16_e32 v29, 0xb94e, v29
	v_add_f16_e32 v60, v40, v35
	v_mul_f16_e32 v61, 0xbb7b, v53
	v_sub_f16_e32 v35, v40, v35
	v_add_f16_e32 v54, v54, v57
	v_fmamk_f16 v57, v28, 0xb9fd, v29
	v_fma_f16 v28, v28, 0xb9fd, -v29
	v_add_f16_e32 v27, v55, v27
	v_fma_f16 v29, v60, 0xb5ac, -v61
	v_mul_f16_e32 v40, 0xbb7b, v35
	v_mul_f16_e32 v55, 0x394e, v35
	v_add_f16_e32 v25, v28, v25
	v_add_f16_e32 v48, v57, v48
	;; [unrolled: 1-line block ×3, first 2 shown]
	v_fmamk_f16 v29, v27, 0xb5ac, v40
	v_mul_f16_e32 v30, 0x394e, v53
	v_fma_f16 v40, v27, 0xb5ac, -v40
	v_mul_f16_e32 v57, 0x3770, v53
	v_add_f16_e32 v44, v44, v56
	v_add_f16_e32 v29, v29, v31
	v_fma_f16 v31, v60, 0xb9fd, -v30
	v_add_f16_e32 v40, v40, v41
	v_fmamk_f16 v41, v27, 0xb9fd, v55
	v_fma_f16 v56, v64, 0xb9fd, -v59
	v_fmac_f16_e32 v59, 0xb9fd, v64
	v_add_f16_e32 v31, v31, v32
	v_fma_f16 v32, v27, 0xb9fd, -v55
	v_fmac_f16_e32 v30, 0xb9fd, v60
	v_add_f16_e32 v41, v41, v42
	v_fma_f16 v42, v60, 0x3b15, -v57
	v_mul_f16_e32 v55, 0x3770, v35
	v_add_f16_e32 v32, v32, v34
	v_mul_f16_e32 v34, 0xbbf1, v53
	v_add_f16_e32 v37, v59, v37
	v_add_f16_e32 v30, v30, v36
	;; [unrolled: 1-line block ×3, first 2 shown]
	v_fmamk_f16 v42, v27, 0x3b15, v55
	v_fmac_f16_e32 v57, 0x3b15, v60
	v_fma_f16 v43, v27, 0x3b15, -v55
	v_fma_f16 v55, v60, 0x2fb7, -v34
	v_mul_f16_e32 v59, 0xbbf1, v35
	v_add_f16_e32 v42, v42, v45
	v_add_f16_e32 v45, v57, v47
	;; [unrolled: 1-line block ×4, first 2 shown]
	v_fmamk_f16 v47, v27, 0x2fb7, v59
	v_mul_f16_e32 v49, 0x33a8, v53
	v_fmac_f16_e32 v34, 0x2fb7, v60
	v_mul_f16_e32 v55, 0x33a8, v35
	v_mul_f16_e32 v53, 0x3a95, v53
	v_add_f16_e32 v47, v47, v50
	v_fma_f16 v50, v60, 0xbbc4, -v49
	v_fmac_f16_e32 v49, 0xbbc4, v60
	v_add_f16_e32 v56, v56, v62
	v_add_f16_e32 v34, v34, v39
	v_fmamk_f16 v39, v27, 0xbbc4, v55
	v_add_f16_e32 v50, v50, v52
	v_fma_f16 v52, v60, 0x388b, -v53
	v_add_f16_e32 v49, v49, v51
	v_sub_f16_e32 v51, v23, v33
	v_add_f16_e32 v39, v39, v44
	v_fma_f16 v44, v27, 0xbbc4, -v55
	v_mul_f16_e32 v35, 0x3a95, v35
	v_add_f16_e32 v52, v52, v56
	v_add_f16_e32 v55, v24, v26
	v_mul_f16_e32 v56, 0xb94e, v51
	v_sub_f16_e32 v24, v24, v26
	v_fma_f16 v57, v27, 0x2fb7, -v59
	v_add_f16_e32 v44, v44, v54
	v_fmamk_f16 v54, v27, 0x388b, v35
	v_fma_f16 v26, v27, 0x388b, -v35
	v_add_f16_e32 v23, v23, v33
	v_fma_f16 v27, v55, 0xb9fd, -v56
	v_mul_f16_e32 v33, 0xb94e, v24
	v_fmac_f16_e32 v53, 0x388b, v60
	v_add_f16_e32 v25, v26, v25
	v_add_f16_e32 v35, v54, v48
	;; [unrolled: 1-line block ×3, first 2 shown]
	v_fmamk_f16 v27, v23, 0xb9fd, v33
	v_mul_f16_e32 v28, 0x3bf1, v51
	v_fma_f16 v33, v23, 0xb9fd, -v33
	v_mul_f16_e32 v48, 0x3bf1, v24
	v_add_f16_e32 v37, v53, v37
	v_add_f16_e32 v27, v27, v29
	v_fma_f16 v29, v55, 0x2fb7, -v28
	v_add_f16_e32 v33, v33, v40
	v_fmamk_f16 v40, v23, 0x2fb7, v48
	v_mul_f16_e32 v53, 0xba95, v51
	v_fmac_f16_e32 v28, 0x2fb7, v55
	v_add_f16_e32 v29, v29, v31
	v_fma_f16 v31, v23, 0x2fb7, -v48
	v_add_f16_e32 v40, v40, v41
	v_fma_f16 v41, v55, 0x388b, -v53
	v_mul_f16_e32 v48, 0xba95, v24
	v_add_f16_e32 v28, v28, v30
	v_add_f16_e32 v30, v31, v32
	v_mul_f16_e32 v31, 0x33a8, v51
	v_add_f16_e32 v32, v41, v36
	v_fmamk_f16 v36, v23, 0x388b, v48
	v_fmac_f16_e32 v53, 0x388b, v55
	v_fma_f16 v41, v23, 0x388b, -v48
	v_fma_f16 v48, v55, 0xbbc4, -v31
	v_mul_f16_e32 v54, 0x33a8, v24
	v_add_f16_e32 v36, v36, v42
	v_add_f16_e32 v42, v53, v45
	;; [unrolled: 1-line block ×4, first 2 shown]
	v_fmamk_f16 v45, v23, 0xbbc4, v54
	v_mul_f16_e32 v46, 0x3770, v51
	v_fmac_f16_e32 v31, 0xbbc4, v55
	v_mul_f16_e32 v48, 0x3770, v24
	v_fmac_f16_e32 v69, 0x388b, v68
	v_add_f16_e32 v45, v45, v47
	v_fma_f16 v47, v55, 0x3b15, -v46
	v_add_f16_e32 v31, v31, v34
	v_fmamk_f16 v34, v23, 0x3b15, v48
	v_mul_f16_e32 v51, 0xbb7b, v51
	v_fmac_f16_e32 v46, 0x3b15, v55
	v_add_f16_e32 v38, v69, v38
	v_fmac_f16_e32 v65, 0x2fb7, v64
	v_add_f16_e32 v34, v34, v39
	v_fma_f16 v39, v23, 0x3b15, -v48
	v_fma_f16 v48, v55, 0xb5ac, -v51
	v_add_f16_e32 v46, v46, v49
	v_sub_f16_e32 v49, v10, v13
	v_add_f16_e32 v38, v65, v38
	v_fmac_f16_e32 v61, 0xb5ac, v60
	v_add_f16_e32 v47, v47, v50
	v_mul_f16_e32 v24, 0xbb7b, v24
	v_add_f16_e32 v39, v39, v44
	v_add_f16_e32 v44, v48, v52
	;; [unrolled: 1-line block ×3, first 2 shown]
	v_mul_f16_e32 v52, 0xb3a8, v49
	v_sub_f16_e32 v11, v11, v12
	v_add_f16_e32 v38, v61, v38
	v_fmac_f16_e32 v56, 0xb9fd, v55
	v_fma_f16 v53, v23, 0xbbc4, -v54
	v_fmamk_f16 v48, v23, 0xb5ac, v24
	v_fma_f16 v12, v23, 0xb5ac, -v24
	v_add_f16_e32 v10, v10, v13
	v_fma_f16 v13, v50, 0xbbc4, -v52
	v_mul_f16_e32 v23, 0xb3a8, v11
	v_add_f16_e32 v38, v56, v38
	v_fmac_f16_e32 v51, 0xb5ac, v55
	v_add_f16_e32 v35, v48, v35
	v_add_f16_e32 v12, v12, v25
	;; [unrolled: 1-line block ×3, first 2 shown]
	v_fmamk_f16 v24, v10, 0xbbc4, v23
	v_mul_f16_e32 v25, 0x3770, v49
	v_fmac_f16_e32 v52, 0xbbc4, v50
	v_fma_f16 v26, v10, 0xbbc4, -v23
	v_mul_f16_e32 v48, 0x3770, v11
	v_add_f16_e32 v37, v51, v37
	v_add_f16_e32 v27, v24, v27
	v_fma_f16 v51, v50, 0x3b15, -v25
	v_add_f16_e32 v23, v52, v38
	v_add_f16_e32 v24, v26, v33
	v_fmamk_f16 v26, v10, 0x3b15, v48
	v_mul_f16_e32 v33, 0xb94e, v49
	v_fmac_f16_e32 v25, 0x3b15, v50
	v_fma_f16 v38, v10, 0x3b15, -v48
	v_mul_f16_e32 v48, 0xb94e, v11
	v_add_f16_e32 v26, v26, v40
	v_fma_f16 v40, v50, 0xb9fd, -v33
	v_add_f16_e32 v25, v25, v28
	v_add_f16_e32 v28, v38, v30
	v_mul_f16_e32 v30, 0x3a95, v49
	v_add_f16_e32 v57, v57, v58
	v_add_f16_e32 v29, v51, v29
	v_add_f16_e32 v32, v40, v32
	v_fmamk_f16 v38, v10, 0xb9fd, v48
	v_fma_f16 v40, v10, 0xb9fd, -v48
	v_fma_f16 v48, v50, 0x388b, -v30
	v_mul_f16_e32 v51, 0x3a95, v11
	v_add_f16_e32 v53, v53, v57
	v_fmac_f16_e32 v33, 0xb9fd, v50
	v_add_f16_e32 v36, v38, v36
	v_add_f16_e32 v38, v40, v41
	;; [unrolled: 1-line block ×3, first 2 shown]
	v_fmac_f16_e32 v30, 0x388b, v50
	v_fma_f16 v43, v10, 0x388b, -v51
	v_mul_f16_e32 v48, 0xbb7b, v11
	v_add_f16_e32 v33, v33, v42
	v_fmamk_f16 v41, v10, 0x388b, v51
	v_mul_f16_e32 v42, 0xbb7b, v49
	v_add_f16_e32 v30, v30, v31
	v_add_f16_e32 v31, v43, v53
	v_fmamk_f16 v43, v10, 0xb5ac, v48
	v_mul_f16_e32 v49, 0x3bf1, v49
	v_add_f16_e32 v41, v41, v45
	v_fma_f16 v45, v50, 0xb5ac, -v42
	v_mul_f16_e32 v11, 0x3bf1, v11
	v_add_f16_e32 v34, v43, v34
	v_fma_f16 v43, v50, 0x2fb7, -v49
	v_fmac_f16_e32 v49, 0x2fb7, v50
	v_add_f16_e32 v45, v45, v47
	v_fma_f16 v47, v10, 0xb5ac, -v48
	v_fmac_f16_e32 v42, 0xb5ac, v50
	v_add_f16_e32 v43, v43, v44
	v_fmamk_f16 v44, v10, 0x2fb7, v11
	v_fma_f16 v10, v10, 0x2fb7, -v11
	v_pack_b32_f16 v4, v8, v9
	v_pack_b32_f16 v8, v13, v27
	;; [unrolled: 1-line block ×3, first 2 shown]
	v_add_f16_e32 v11, v44, v35
	v_add_f16_e32 v35, v49, v37
	v_add_f16_e32 v10, v10, v12
	v_pack_b32_f16 v12, v32, v36
	v_add_f16_e32 v42, v42, v46
	v_add_f16_e32 v39, v47, v39
	ds_store_2addr_b32 v2, v4, v8 offset1:13
	ds_store_2addr_b32 v2, v9, v12 offset0:26 offset1:39
	v_pack_b32_f16 v4, v40, v41
	v_pack_b32_f16 v8, v45, v34
	;; [unrolled: 1-line block ×9, first 2 shown]
	ds_store_2addr_b32 v2, v4, v8 offset0:52 offset1:65
	ds_store_2addr_b32 v2, v9, v10 offset0:78 offset1:91
	;; [unrolled: 1-line block ×4, first 2 shown]
	ds_store_b32 v2, v26 offset:624
	v_add_nc_u32_e32 v2, 0x200, v6
	global_wb scope:SCOPE_SE
	s_wait_dscnt 0x0
	s_barrier_signal -1
	s_barrier_wait -1
	global_inv scope:SCOPE_SE
	ds_load_2addr_b32 v[10:11], v6 offset1:169
	ds_load_2addr_b32 v[8:9], v5 offset0:82 offset1:134
	ds_load_2addr_b32 v[12:13], v5 offset0:186 offset1:251
	;; [unrolled: 1-line block ×4, first 2 shown]
	ds_load_b32 v27, v21
	ds_load_b32 v28, v22
                                        ; implicit-def: $vgpr21
                                        ; implicit-def: $vgpr2
                                        ; implicit-def: $vgpr25
                                        ; implicit-def: $vgpr26
                                        ; implicit-def: $vgpr22
	s_and_saveexec_b32 s1, s0
	s_cbranch_execz .LBB0_15
; %bb.14:
	v_mul_i32_i24_e32 v2, 0xffffffd0, v16
	s_delay_alu instid0(VALU_DEP_1) | instskip(NEXT) | instid1(VALU_DEP_1)
	v_add_nc_u32_e32 v21, v3, v2
	v_add_nc_u32_e32 v2, 0x400, v21
	ds_load_b32 v23, v15
	ds_load_2addr_b32 v[2:3], v2 offset0:69 offset1:238
	ds_load_b32 v22, v21 offset:2652
	s_wait_dscnt 0x2
	v_lshrrev_b32_e32 v24, 16, v23
	s_wait_dscnt 0x1
	v_lshrrev_b32_e32 v21, 16, v2
	v_lshrrev_b32_e32 v25, 16, v3
	s_wait_dscnt 0x0
	v_lshrrev_b32_e32 v26, 16, v22
.LBB0_15:
	s_wait_alu 0xfffe
	s_or_b32 exec_lo, exec_lo, s1
	s_and_saveexec_b32 s1, vcc_lo
	s_cbranch_execz .LBB0_18
; %bb.16:
	v_mul_u32_u24_e32 v15, 3, v16
	v_mul_i32_i24_e32 v14, 3, v14
	v_mad_co_u64_u32 v[38:39], null, s8, v16, 0
	v_mad_co_u64_u32 v[40:41], null, s8, v18, 0
	s_delay_alu instid0(VALU_DEP_4)
	v_lshlrev_b32_e32 v29, 2, v15
	v_dual_mov_b32 v15, 0 :: v_dual_add_nc_u32 v58, 0x152, v16
	v_add_nc_u32_e32 v57, 0xa9, v16
	v_mul_hi_u32 v54, 0x60f25deb, v19
	s_wait_dscnt 0x6
	v_lshrrev_b32_e32 v76, 16, v11
	v_lshlrev_b64_e32 v[32:33], 2, v[14:15]
	v_mul_i32_i24_e32 v14, 3, v20
	v_mov_b32_e32 v20, v41
	v_mad_co_u64_u32 v[42:43], null, s8, v57, 0
	v_mad_co_u64_u32 v[44:45], null, s8, v58, 0
	s_delay_alu instid0(VALU_DEP_4)
	v_lshlrev_b64_e32 v[35:36], 2, v[14:15]
	v_add_co_u32 v32, vcc_lo, s4, v32
	s_wait_alu 0xfffd
	v_add_co_ci_u32_e32 v33, vcc_lo, s5, v33, vcc_lo
	v_mov_b32_e32 v14, v39
	global_load_b96 v[29:31], v29, s[4:5] offset:624
	v_add_co_u32 v35, vcc_lo, s4, v35
	global_load_b96 v[32:34], v[32:33], off offset:624
	s_wait_alu 0xfffd
	v_add_co_ci_u32_e32 v36, vcc_lo, s5, v36, vcc_lo
	v_add_nc_u32_e32 v59, 0x1fb, v16
	v_dual_mov_b32 v39, v45 :: v_dual_add_nc_u32 v60, 0xdd, v16
	global_load_b96 v[35:37], v[35:36], off offset:624
	v_lshrrev_b32_e32 v63, 6, v54
	v_mad_co_u64_u32 v[54:55], null, s9, v16, v[14:15]
	v_mad_co_u64_u32 v[48:49], null, s8, v60, 0
	v_mov_b32_e32 v14, v43
	v_mad_co_u64_u32 v[46:47], null, s8, v59, 0
	v_add_nc_u32_e32 v61, 0x186, v16
	v_add_nc_u32_e32 v62, 0x22f, v16
	v_mad_co_u64_u32 v[55:56], null, s9, v18, v[20:21]
	v_mov_b32_e32 v18, v49
	s_delay_alu instid0(VALU_DEP_4)
	v_mad_co_u64_u32 v[50:51], null, s8, v61, 0
	v_mov_b32_e32 v41, v47
	v_mad_co_u64_u32 v[52:53], null, s8, v62, 0
	v_mad_u32_u24 v78, 0x1fb, v63, v19
	v_mad_co_u64_u32 v[56:57], null, s9, v57, v[14:15]
	v_mov_b32_e32 v20, v51
	v_mad_co_u64_u32 v[57:58], null, s9, v58, v[39:40]
	v_mov_b32_e32 v43, v53
	v_mad_co_u64_u32 v[58:59], null, s9, v59, v[41:42]
	v_mad_co_u64_u32 v[18:19], null, s9, v60, v[18:19]
	s_delay_alu instid0(VALU_DEP_3)
	v_mad_co_u64_u32 v[59:60], null, s9, v62, v[43:44]
	v_mad_co_u64_u32 v[19:20], null, s9, v61, v[20:21]
	;; [unrolled: 1-line block ×3, first 2 shown]
	v_add_nc_u32_e32 v79, 0xa9, v78
	v_dual_mov_b32 v39, v54 :: v_dual_add_nc_u32 v80, 0x152, v78
	v_mov_b32_e32 v43, v56
	v_mov_b32_e32 v45, v57
	;; [unrolled: 1-line block ×3, first 2 shown]
	s_delay_alu instid0(VALU_DEP_4)
	v_mad_co_u64_u32 v[62:63], null, s8, v80, 0
	v_dual_mov_b32 v41, v55 :: v_dual_mov_b32 v14, v61
	v_mad_co_u64_u32 v[54:55], null, s8, v79, 0
	v_add_nc_u32_e32 v81, 0x1fb, v78
	v_mov_b32_e32 v49, v18
	v_mov_b32_e32 v51, v19
	;; [unrolled: 1-line block ×3, first 2 shown]
	v_lshlrev_b64_e32 v[18:19], 2, v[42:43]
	v_lshlrev_b64_e32 v[42:43], 2, v[44:45]
	v_lshlrev_b64_e32 v[44:45], 2, v[46:47]
	v_lshlrev_b64_e32 v[46:47], 2, v[48:49]
	v_lshlrev_b64_e32 v[48:49], 2, v[50:51]
	v_lshlrev_b64_e32 v[50:51], 2, v[52:53]
	v_mad_co_u64_u32 v[52:53], null, s9, v78, v[14:15]
	v_mov_b32_e32 v14, v55
	v_mad_co_u64_u32 v[64:65], null, s8, v81, 0
	v_mov_b32_e32 v20, v63
	s_wait_dscnt 0x4
	v_lshrrev_b32_e32 v77, 16, v13
	v_mad_co_u64_u32 v[55:56], null, s9, v79, v[14:15]
	v_mov_b32_e32 v61, v52
	v_mad_co_u64_u32 v[56:57], null, s9, v80, v[20:21]
	v_mov_b32_e32 v53, v65
	s_wait_dscnt 0x3
	v_lshrrev_b32_e32 v71, 16, v5
	v_lshrrev_b32_e32 v75, 16, v8
	;; [unrolled: 1-line block ×3, first 2 shown]
	s_wait_dscnt 0x2
	v_lshrrev_b32_e32 v70, 16, v7
	v_mad_co_u64_u32 v[57:58], null, s9, v81, v[53:54]
	v_mov_b32_e32 v63, v56
	v_lshlrev_b64_e32 v[52:53], 2, v[60:61]
	v_lshlrev_b64_e32 v[38:39], 2, v[38:39]
	v_lshrrev_b32_e32 v66, 16, v10
	v_lshrrev_b32_e32 v72, 16, v9
	;; [unrolled: 1-line block ×3, first 2 shown]
	v_mov_b32_e32 v65, v57
	v_lshlrev_b64_e32 v[56:57], 2, v[62:63]
	v_lshrrev_b32_e32 v74, 16, v6
	v_add_co_u32 v0, vcc_lo, s10, v0
	s_delay_alu instid0(VALU_DEP_4)
	v_lshlrev_b64_e32 v[58:59], 2, v[64:65]
	s_wait_alu 0xfffd
	v_add_co_ci_u32_e32 v1, vcc_lo, s11, v1, vcc_lo
	v_lshlrev_b64_e32 v[40:41], 2, v[40:41]
	v_add_co_u32 v38, vcc_lo, v0, v38
	s_wait_alu 0xfffd
	s_delay_alu instid0(VALU_DEP_3)
	v_add_co_ci_u32_e32 v39, vcc_lo, v1, v39, vcc_lo
	s_wait_dscnt 0x1
	v_lshrrev_b32_e32 v67, 16, v27
	v_add_co_u32 v40, vcc_lo, v0, v40
	s_wait_dscnt 0x0
	v_lshrrev_b32_e32 v68, 16, v28
	s_wait_alu 0xfffd
	v_add_co_ci_u32_e32 v41, vcc_lo, v1, v41, vcc_lo
	v_add_co_u32 v18, vcc_lo, v0, v18
	s_wait_alu 0xfffd
	v_add_co_ci_u32_e32 v19, vcc_lo, v1, v19, vcc_lo
	v_add_co_u32 v42, vcc_lo, v0, v42
	;; [unrolled: 3-line block ×6, first 2 shown]
	v_lshlrev_b64_e32 v[54:55], 2, v[54:55]
	s_wait_alu 0xfffd
	v_add_co_ci_u32_e32 v51, vcc_lo, v1, v51, vcc_lo
	v_add_co_u32 v52, vcc_lo, v0, v52
	s_wait_alu 0xfffd
	v_add_co_ci_u32_e32 v53, vcc_lo, v1, v53, vcc_lo
	v_add_co_u32 v54, vcc_lo, v0, v54
	;; [unrolled: 3-line block ×4, first 2 shown]
	s_wait_alu 0xfffd
	v_add_co_ci_u32_e32 v59, vcc_lo, v1, v59, vcc_lo
	s_wait_loadcnt 0x2
	v_lshrrev_b32_e32 v14, 16, v29
	v_lshrrev_b32_e32 v20, 16, v30
	;; [unrolled: 1-line block ×3, first 2 shown]
	v_mul_f16_e32 v61, v29, v76
	v_mul_f16_e32 v62, v31, v77
	s_wait_loadcnt 0x1
	v_lshrrev_b32_e32 v64, 16, v32
	v_mul_f16_e32 v63, v20, v75
	v_mul_f16_e32 v20, v20, v8
	v_fmac_f16_e32 v61, v14, v11
	v_fmac_f16_e32 v62, v60, v13
	v_mul_f16_e32 v14, v14, v76
	v_mul_f16_e32 v60, v60, v77
	v_lshrrev_b32_e32 v65, 16, v33
	v_lshrrev_b32_e32 v76, 16, v34
	v_mul_f16_e32 v77, v32, v71
	v_mul_f16_e32 v78, v70, v34
	v_fma_f16 v8, v30, v8, -v63
	v_fmac_f16_e32 v20, v30, v75
	v_fma_f16 v11, v29, v11, -v14
	v_fma_f16 v13, v31, v13, -v60
	v_mul_f16_e32 v14, v69, v65
	v_fmac_f16_e32 v77, v64, v5
	v_mul_f16_e32 v29, v12, v65
	v_mul_f16_e32 v30, v64, v71
	;; [unrolled: 1-line block ×3, first 2 shown]
	s_wait_loadcnt 0x0
	v_lshrrev_b32_e32 v60, 16, v35
	v_lshrrev_b32_e32 v63, 16, v36
	;; [unrolled: 1-line block ×3, first 2 shown]
	v_sub_f16_e32 v62, v61, v62
	v_fmac_f16_e32 v78, v7, v76
	v_mul_f16_e32 v65, v35, v73
	v_mul_f16_e32 v70, v37, v74
	v_sub_f16_e32 v8, v10, v8
	v_sub_f16_e32 v20, v66, v20
	;; [unrolled: 1-line block ×3, first 2 shown]
	v_fma_f16 v12, v12, v33, -v14
	v_fmac_f16_e32 v29, v69, v33
	v_fma_f16 v5, v32, v5, -v30
	v_fma_f16 v7, v7, v34, -v31
	v_mul_f16_e32 v30, v63, v72
	v_mul_f16_e32 v31, v63, v9
	;; [unrolled: 1-line block ×4, first 2 shown]
	v_fma_f16 v61, v61, 2.0, -v62
	v_fmac_f16_e32 v65, v60, v4
	v_fmac_f16_e32 v70, v64, v6
	v_add_f16_e32 v60, v20, v13
	v_fma_f16 v10, v10, 2.0, -v8
	v_fma_f16 v11, v11, 2.0, -v13
	;; [unrolled: 1-line block ×3, first 2 shown]
	v_sub_f16_e32 v12, v28, v12
	v_sub_f16_e32 v7, v5, v7
	v_fma_f16 v9, v36, v9, -v30
	v_fmac_f16_e32 v31, v36, v72
	v_fma_f16 v4, v35, v4, -v32
	v_fma_f16 v6, v37, v6, -v33
	v_sub_f16_e32 v14, v77, v78
	v_sub_f16_e32 v34, v8, v62
	;; [unrolled: 1-line block ×6, first 2 shown]
	v_fma_f16 v28, v28, 2.0, -v12
	v_fma_f16 v5, v5, 2.0, -v7
	v_sub_f16_e32 v9, v27, v9
	v_sub_f16_e32 v31, v67, v31
	;; [unrolled: 1-line block ×3, first 2 shown]
	v_fma_f16 v62, v77, 2.0, -v14
	v_fma_f16 v8, v8, 2.0, -v34
	;; [unrolled: 1-line block ×3, first 2 shown]
	v_pack_b32_f16 v33, v34, v60
	v_sub_f16_e32 v14, v12, v14
	v_add_f16_e32 v34, v29, v7
	v_fma_f16 v35, v65, 2.0, -v30
	v_fma_f16 v10, v10, 2.0, -v11
	;; [unrolled: 1-line block ×3, first 2 shown]
	v_pack_b32_f16 v11, v11, v32
	v_sub_f16_e32 v5, v28, v5
	v_add_f16_e32 v32, v31, v6
	v_fma_f16 v27, v27, 2.0, -v9
	v_fma_f16 v4, v4, 2.0, -v6
	;; [unrolled: 1-line block ×4, first 2 shown]
	v_pack_b32_f16 v8, v8, v20
	v_fma_f16 v12, v12, 2.0, -v14
	v_fma_f16 v20, v29, 2.0, -v34
	v_pack_b32_f16 v10, v10, v13
	v_fma_f16 v13, v28, 2.0, -v5
	v_sub_f16_e32 v4, v27, v4
	v_sub_f16_e32 v28, v6, v35
	;; [unrolled: 1-line block ×4, first 2 shown]
	v_pack_b32_f16 v12, v12, v20
	v_fma_f16 v20, v27, 2.0, -v4
	v_fma_f16 v6, v6, 2.0, -v28
	;; [unrolled: 1-line block ×5, first 2 shown]
	s_clause 0x2
	global_store_b32 v[38:39], v10, off
	global_store_b32 v[18:19], v8, off
	;; [unrolled: 1-line block ×3, first 2 shown]
	v_pack_b32_f16 v6, v20, v6
	v_pack_b32_f16 v4, v4, v28
	;; [unrolled: 1-line block ×7, first 2 shown]
	s_clause 0x8
	global_store_b32 v[44:45], v33, off
	global_store_b32 v[40:41], v6, off
	;; [unrolled: 1-line block ×9, first 2 shown]
	s_and_b32 exec_lo, exec_lo, s0
	s_cbranch_execz .LBB0_18
; %bb.17:
	v_add_nc_u32_e32 v4, -13, v16
	v_add_nc_u32_e32 v18, 0x1ee, v16
	v_add_nc_u32_e32 v19, 0x297, v16
	s_delay_alu instid0(VALU_DEP_3) | instskip(SKIP_1) | instid1(VALU_DEP_4)
	v_cndmask_b32_e64 v4, v4, v17, s0
	v_add_nc_u32_e32 v17, 0x145, v16
	v_mad_co_u64_u32 v[11:12], null, s8, v18, 0
	s_delay_alu instid0(VALU_DEP_3) | instskip(NEXT) | instid1(VALU_DEP_3)
	v_mul_i32_i24_e32 v14, 3, v4
	v_mad_co_u64_u32 v[9:10], null, s8, v17, 0
	s_delay_alu instid0(VALU_DEP_2) | instskip(SKIP_2) | instid1(VALU_DEP_2)
	v_lshlrev_b64_e32 v[4:5], 2, v[14:15]
	v_add_nc_u32_e32 v15, 0x9c, v16
	v_mad_co_u64_u32 v[13:14], null, s8, v19, 0
	v_mad_co_u64_u32 v[7:8], null, s8, v15, 0
	s_delay_alu instid0(VALU_DEP_4) | instskip(SKIP_2) | instid1(VALU_DEP_3)
	v_add_co_u32 v4, vcc_lo, s4, v4
	s_wait_alu 0xfffd
	v_add_co_ci_u32_e32 v5, vcc_lo, s5, v5, vcc_lo
	v_mad_co_u64_u32 v[15:16], null, s9, v15, v[8:9]
	global_load_b96 v[4:6], v[4:5], off offset:624
	v_mov_b32_e32 v8, v15
	v_mad_co_u64_u32 v[16:17], null, s9, v17, v[10:11]
	v_mad_co_u64_u32 v[17:18], null, s9, v18, v[12:13]
	s_delay_alu instid0(VALU_DEP_3) | instskip(NEXT) | instid1(VALU_DEP_3)
	v_lshlrev_b64_e32 v[7:8], 2, v[7:8]
	v_mov_b32_e32 v10, v16
	s_delay_alu instid0(VALU_DEP_3) | instskip(SKIP_1) | instid1(VALU_DEP_3)
	v_mov_b32_e32 v12, v17
	v_mad_co_u64_u32 v[18:19], null, s9, v19, v[14:15]
	v_lshlrev_b64_e32 v[9:10], 2, v[9:10]
	s_delay_alu instid0(VALU_DEP_3) | instskip(NEXT) | instid1(VALU_DEP_3)
	v_lshlrev_b64_e32 v[11:12], 2, v[11:12]
	v_mov_b32_e32 v14, v18
	s_wait_loadcnt 0x0
	v_lshrrev_b32_e32 v15, 16, v4
	v_lshrrev_b32_e32 v16, 16, v5
	;; [unrolled: 1-line block ×3, first 2 shown]
	s_delay_alu instid0(VALU_DEP_3) | instskip(SKIP_1) | instid1(VALU_DEP_4)
	v_mul_f16_e32 v18, v21, v15
	v_mul_f16_e32 v15, v2, v15
	;; [unrolled: 1-line block ×6, first 2 shown]
	v_fma_f16 v18, v2, v4, -v18
	v_fmac_f16_e32 v15, v21, v4
	v_fma_f16 v4, v3, v5, -v19
	v_fmac_f16_e32 v16, v25, v5
	v_fma_f16 v5, v22, v6, -v20
	v_fmac_f16_e32 v17, v26, v6
	v_lshlrev_b64_e32 v[2:3], 2, v[13:14]
	v_sub_f16_e32 v13, v23, v4
	v_sub_f16_e32 v14, v24, v16
	;; [unrolled: 1-line block ×4, first 2 shown]
	v_add_co_u32 v4, vcc_lo, v0, v7
	s_wait_alu 0xfffd
	v_add_co_ci_u32_e32 v5, vcc_lo, v1, v8, vcc_lo
	v_fma_f16 v19, v23, 2.0, -v13
	v_fma_f16 v20, v24, 2.0, -v14
	;; [unrolled: 1-line block ×4, first 2 shown]
	v_add_co_u32 v6, vcc_lo, v0, v9
	s_wait_alu 0xfffd
	v_add_co_ci_u32_e32 v7, vcc_lo, v1, v10, vcc_lo
	v_sub_f16_e32 v10, v13, v17
	v_add_f16_e32 v16, v14, v16
	v_sub_f16_e32 v17, v19, v8
	v_sub_f16_e32 v15, v20, v15
	v_add_co_u32 v8, vcc_lo, v0, v11
	s_wait_alu 0xfffd
	v_add_co_ci_u32_e32 v9, vcc_lo, v1, v12, vcc_lo
	v_fma_f16 v11, v13, 2.0, -v10
	v_fma_f16 v12, v14, 2.0, -v16
	;; [unrolled: 1-line block ×4, first 2 shown]
	v_add_co_u32 v0, vcc_lo, v0, v2
	s_wait_alu 0xfffd
	v_add_co_ci_u32_e32 v1, vcc_lo, v1, v3, vcc_lo
	s_delay_alu instid0(VALU_DEP_3)
	v_pack_b32_f16 v2, v13, v14
	v_pack_b32_f16 v3, v11, v12
	;; [unrolled: 1-line block ×4, first 2 shown]
	s_clause 0x3
	global_store_b32 v[4:5], v2, off
	global_store_b32 v[6:7], v3, off
	;; [unrolled: 1-line block ×4, first 2 shown]
.LBB0_18:
	s_nop 0
	s_sendmsg sendmsg(MSG_DEALLOC_VGPRS)
	s_endpgm
	.section	.rodata,"a",@progbits
	.p2align	6, 0x0
	.amdhsa_kernel fft_rtc_fwd_len676_factors_13_13_4_wgs_52_tpt_52_half_ip_CI_sbrr_dirReg
		.amdhsa_group_segment_fixed_size 0
		.amdhsa_private_segment_fixed_size 0
		.amdhsa_kernarg_size 88
		.amdhsa_user_sgpr_count 2
		.amdhsa_user_sgpr_dispatch_ptr 0
		.amdhsa_user_sgpr_queue_ptr 0
		.amdhsa_user_sgpr_kernarg_segment_ptr 1
		.amdhsa_user_sgpr_dispatch_id 0
		.amdhsa_user_sgpr_private_segment_size 0
		.amdhsa_wavefront_size32 1
		.amdhsa_uses_dynamic_stack 0
		.amdhsa_enable_private_segment 0
		.amdhsa_system_sgpr_workgroup_id_x 1
		.amdhsa_system_sgpr_workgroup_id_y 0
		.amdhsa_system_sgpr_workgroup_id_z 0
		.amdhsa_system_sgpr_workgroup_info 0
		.amdhsa_system_vgpr_workitem_id 0
		.amdhsa_next_free_vgpr 82
		.amdhsa_next_free_sgpr 35
		.amdhsa_reserve_vcc 1
		.amdhsa_float_round_mode_32 0
		.amdhsa_float_round_mode_16_64 0
		.amdhsa_float_denorm_mode_32 3
		.amdhsa_float_denorm_mode_16_64 3
		.amdhsa_fp16_overflow 0
		.amdhsa_workgroup_processor_mode 1
		.amdhsa_memory_ordered 1
		.amdhsa_forward_progress 0
		.amdhsa_round_robin_scheduling 0
		.amdhsa_exception_fp_ieee_invalid_op 0
		.amdhsa_exception_fp_denorm_src 0
		.amdhsa_exception_fp_ieee_div_zero 0
		.amdhsa_exception_fp_ieee_overflow 0
		.amdhsa_exception_fp_ieee_underflow 0
		.amdhsa_exception_fp_ieee_inexact 0
		.amdhsa_exception_int_div_zero 0
	.end_amdhsa_kernel
	.text
.Lfunc_end0:
	.size	fft_rtc_fwd_len676_factors_13_13_4_wgs_52_tpt_52_half_ip_CI_sbrr_dirReg, .Lfunc_end0-fft_rtc_fwd_len676_factors_13_13_4_wgs_52_tpt_52_half_ip_CI_sbrr_dirReg
                                        ; -- End function
	.section	.AMDGPU.csdata,"",@progbits
; Kernel info:
; codeLenInByte = 11208
; NumSgprs: 37
; NumVgprs: 82
; ScratchSize: 0
; MemoryBound: 0
; FloatMode: 240
; IeeeMode: 1
; LDSByteSize: 0 bytes/workgroup (compile time only)
; SGPRBlocks: 4
; VGPRBlocks: 10
; NumSGPRsForWavesPerEU: 37
; NumVGPRsForWavesPerEU: 82
; Occupancy: 16
; WaveLimiterHint : 1
; COMPUTE_PGM_RSRC2:SCRATCH_EN: 0
; COMPUTE_PGM_RSRC2:USER_SGPR: 2
; COMPUTE_PGM_RSRC2:TRAP_HANDLER: 0
; COMPUTE_PGM_RSRC2:TGID_X_EN: 1
; COMPUTE_PGM_RSRC2:TGID_Y_EN: 0
; COMPUTE_PGM_RSRC2:TGID_Z_EN: 0
; COMPUTE_PGM_RSRC2:TIDIG_COMP_CNT: 0
	.text
	.p2alignl 7, 3214868480
	.fill 96, 4, 3214868480
	.type	__hip_cuid_93401a4a4f0eb773,@object ; @__hip_cuid_93401a4a4f0eb773
	.section	.bss,"aw",@nobits
	.globl	__hip_cuid_93401a4a4f0eb773
__hip_cuid_93401a4a4f0eb773:
	.byte	0                               ; 0x0
	.size	__hip_cuid_93401a4a4f0eb773, 1

	.ident	"AMD clang version 19.0.0git (https://github.com/RadeonOpenCompute/llvm-project roc-6.4.0 25133 c7fe45cf4b819c5991fe208aaa96edf142730f1d)"
	.section	".note.GNU-stack","",@progbits
	.addrsig
	.addrsig_sym __hip_cuid_93401a4a4f0eb773
	.amdgpu_metadata
---
amdhsa.kernels:
  - .args:
      - .actual_access:  read_only
        .address_space:  global
        .offset:         0
        .size:           8
        .value_kind:     global_buffer
      - .offset:         8
        .size:           8
        .value_kind:     by_value
      - .actual_access:  read_only
        .address_space:  global
        .offset:         16
        .size:           8
        .value_kind:     global_buffer
      - .actual_access:  read_only
        .address_space:  global
        .offset:         24
        .size:           8
        .value_kind:     global_buffer
      - .offset:         32
        .size:           8
        .value_kind:     by_value
      - .actual_access:  read_only
        .address_space:  global
        .offset:         40
        .size:           8
        .value_kind:     global_buffer
      - .actual_access:  read_only
        .address_space:  global
        .offset:         48
        .size:           8
        .value_kind:     global_buffer
      - .offset:         56
        .size:           4
        .value_kind:     by_value
      - .actual_access:  read_only
        .address_space:  global
        .offset:         64
        .size:           8
        .value_kind:     global_buffer
      - .actual_access:  read_only
        .address_space:  global
        .offset:         72
        .size:           8
        .value_kind:     global_buffer
      - .address_space:  global
        .offset:         80
        .size:           8
        .value_kind:     global_buffer
    .group_segment_fixed_size: 0
    .kernarg_segment_align: 8
    .kernarg_segment_size: 88
    .language:       OpenCL C
    .language_version:
      - 2
      - 0
    .max_flat_workgroup_size: 52
    .name:           fft_rtc_fwd_len676_factors_13_13_4_wgs_52_tpt_52_half_ip_CI_sbrr_dirReg
    .private_segment_fixed_size: 0
    .sgpr_count:     37
    .sgpr_spill_count: 0
    .symbol:         fft_rtc_fwd_len676_factors_13_13_4_wgs_52_tpt_52_half_ip_CI_sbrr_dirReg.kd
    .uniform_work_group_size: 1
    .uses_dynamic_stack: false
    .vgpr_count:     82
    .vgpr_spill_count: 0
    .wavefront_size: 32
    .workgroup_processor_mode: 1
amdhsa.target:   amdgcn-amd-amdhsa--gfx1201
amdhsa.version:
  - 1
  - 2
...

	.end_amdgpu_metadata
